;; amdgpu-corpus repo=ROCm/rocFFT kind=compiled arch=gfx1201 opt=O3
	.text
	.amdgcn_target "amdgcn-amd-amdhsa--gfx1201"
	.amdhsa_code_object_version 6
	.protected	fft_rtc_fwd_len1260_factors_2_2_3_3_5_7_wgs_63_tpt_63_halfLds_sp_op_CI_CI_unitstride_sbrr_C2R_dirReg ; -- Begin function fft_rtc_fwd_len1260_factors_2_2_3_3_5_7_wgs_63_tpt_63_halfLds_sp_op_CI_CI_unitstride_sbrr_C2R_dirReg
	.globl	fft_rtc_fwd_len1260_factors_2_2_3_3_5_7_wgs_63_tpt_63_halfLds_sp_op_CI_CI_unitstride_sbrr_C2R_dirReg
	.p2align	8
	.type	fft_rtc_fwd_len1260_factors_2_2_3_3_5_7_wgs_63_tpt_63_halfLds_sp_op_CI_CI_unitstride_sbrr_C2R_dirReg,@function
fft_rtc_fwd_len1260_factors_2_2_3_3_5_7_wgs_63_tpt_63_halfLds_sp_op_CI_CI_unitstride_sbrr_C2R_dirReg: ; @fft_rtc_fwd_len1260_factors_2_2_3_3_5_7_wgs_63_tpt_63_halfLds_sp_op_CI_CI_unitstride_sbrr_C2R_dirReg
; %bb.0:
	s_clause 0x2
	s_load_b128 s[8:11], s[0:1], 0x0
	s_load_b128 s[4:7], s[0:1], 0x58
	;; [unrolled: 1-line block ×3, first 2 shown]
	v_mul_u32_u24_e32 v1, 0x411, v0
	v_mov_b32_e32 v3, 0
	s_delay_alu instid0(VALU_DEP_2) | instskip(NEXT) | instid1(VALU_DEP_1)
	v_lshrrev_b32_e32 v1, 16, v1
	v_add_nc_u32_e32 v5, ttmp9, v1
	v_mov_b32_e32 v1, 0
	v_mov_b32_e32 v2, 0
	;; [unrolled: 1-line block ×3, first 2 shown]
	s_wait_kmcnt 0x0
	v_cmp_lt_u64_e64 s2, s[10:11], 2
	s_delay_alu instid0(VALU_DEP_1)
	s_and_b32 vcc_lo, exec_lo, s2
	s_cbranch_vccnz .LBB0_8
; %bb.1:
	s_load_b64 s[2:3], s[0:1], 0x10
	v_mov_b32_e32 v1, 0
	v_mov_b32_e32 v2, 0
	s_add_nc_u64 s[16:17], s[14:15], 8
	s_add_nc_u64 s[18:19], s[12:13], 8
	s_mov_b64 s[20:21], 1
	s_delay_alu instid0(VALU_DEP_1)
	v_dual_mov_b32 v45, v2 :: v_dual_mov_b32 v44, v1
	s_wait_kmcnt 0x0
	s_add_nc_u64 s[22:23], s[2:3], 8
	s_mov_b32 s3, 0
.LBB0_2:                                ; =>This Inner Loop Header: Depth=1
	s_load_b64 s[24:25], s[22:23], 0x0
                                        ; implicit-def: $vgpr48_vgpr49
	s_mov_b32 s2, exec_lo
	s_wait_kmcnt 0x0
	v_or_b32_e32 v4, s25, v6
	s_delay_alu instid0(VALU_DEP_1)
	v_cmpx_ne_u64_e32 0, v[3:4]
	s_wait_alu 0xfffe
	s_xor_b32 s26, exec_lo, s2
	s_cbranch_execz .LBB0_4
; %bb.3:                                ;   in Loop: Header=BB0_2 Depth=1
	s_cvt_f32_u32 s2, s24
	s_cvt_f32_u32 s27, s25
	s_sub_nc_u64 s[30:31], 0, s[24:25]
	s_wait_alu 0xfffe
	s_delay_alu instid0(SALU_CYCLE_1) | instskip(SKIP_1) | instid1(SALU_CYCLE_2)
	s_fmamk_f32 s2, s27, 0x4f800000, s2
	s_wait_alu 0xfffe
	v_s_rcp_f32 s2, s2
	s_delay_alu instid0(TRANS32_DEP_1) | instskip(SKIP_1) | instid1(SALU_CYCLE_2)
	s_mul_f32 s2, s2, 0x5f7ffffc
	s_wait_alu 0xfffe
	s_mul_f32 s27, s2, 0x2f800000
	s_wait_alu 0xfffe
	s_delay_alu instid0(SALU_CYCLE_2) | instskip(SKIP_1) | instid1(SALU_CYCLE_2)
	s_trunc_f32 s27, s27
	s_wait_alu 0xfffe
	s_fmamk_f32 s2, s27, 0xcf800000, s2
	s_cvt_u32_f32 s29, s27
	s_wait_alu 0xfffe
	s_delay_alu instid0(SALU_CYCLE_1) | instskip(SKIP_1) | instid1(SALU_CYCLE_2)
	s_cvt_u32_f32 s28, s2
	s_wait_alu 0xfffe
	s_mul_u64 s[34:35], s[30:31], s[28:29]
	s_wait_alu 0xfffe
	s_mul_hi_u32 s37, s28, s35
	s_mul_i32 s36, s28, s35
	s_mul_hi_u32 s2, s28, s34
	s_mul_i32 s33, s29, s34
	s_wait_alu 0xfffe
	s_add_nc_u64 s[36:37], s[2:3], s[36:37]
	s_mul_hi_u32 s27, s29, s34
	s_mul_hi_u32 s38, s29, s35
	s_add_co_u32 s2, s36, s33
	s_wait_alu 0xfffe
	s_add_co_ci_u32 s2, s37, s27
	s_mul_i32 s34, s29, s35
	s_add_co_ci_u32 s35, s38, 0
	s_wait_alu 0xfffe
	s_add_nc_u64 s[34:35], s[2:3], s[34:35]
	s_wait_alu 0xfffe
	v_add_co_u32 v4, s2, s28, s34
	s_delay_alu instid0(VALU_DEP_1) | instskip(SKIP_1) | instid1(VALU_DEP_1)
	s_cmp_lg_u32 s2, 0
	s_add_co_ci_u32 s29, s29, s35
	v_readfirstlane_b32 s28, v4
	s_wait_alu 0xfffe
	s_delay_alu instid0(VALU_DEP_1)
	s_mul_u64 s[30:31], s[30:31], s[28:29]
	s_wait_alu 0xfffe
	s_mul_hi_u32 s35, s28, s31
	s_mul_i32 s34, s28, s31
	s_mul_hi_u32 s2, s28, s30
	s_mul_i32 s33, s29, s30
	s_wait_alu 0xfffe
	s_add_nc_u64 s[34:35], s[2:3], s[34:35]
	s_mul_hi_u32 s27, s29, s30
	s_mul_hi_u32 s28, s29, s31
	s_wait_alu 0xfffe
	s_add_co_u32 s2, s34, s33
	s_add_co_ci_u32 s2, s35, s27
	s_mul_i32 s30, s29, s31
	s_add_co_ci_u32 s31, s28, 0
	s_wait_alu 0xfffe
	s_add_nc_u64 s[30:31], s[2:3], s[30:31]
	s_wait_alu 0xfffe
	v_add_co_u32 v4, s2, v4, s30
	s_delay_alu instid0(VALU_DEP_1) | instskip(SKIP_1) | instid1(VALU_DEP_1)
	s_cmp_lg_u32 s2, 0
	s_add_co_ci_u32 s2, s29, s31
	v_mul_hi_u32 v13, v5, v4
	s_wait_alu 0xfffe
	v_mad_co_u64_u32 v[7:8], null, v5, s2, 0
	v_mad_co_u64_u32 v[9:10], null, v6, v4, 0
	;; [unrolled: 1-line block ×3, first 2 shown]
	s_delay_alu instid0(VALU_DEP_3) | instskip(SKIP_1) | instid1(VALU_DEP_4)
	v_add_co_u32 v4, vcc_lo, v13, v7
	s_wait_alu 0xfffd
	v_add_co_ci_u32_e32 v7, vcc_lo, 0, v8, vcc_lo
	s_delay_alu instid0(VALU_DEP_2) | instskip(SKIP_1) | instid1(VALU_DEP_2)
	v_add_co_u32 v4, vcc_lo, v4, v9
	s_wait_alu 0xfffd
	v_add_co_ci_u32_e32 v4, vcc_lo, v7, v10, vcc_lo
	s_wait_alu 0xfffd
	v_add_co_ci_u32_e32 v7, vcc_lo, 0, v12, vcc_lo
	s_delay_alu instid0(VALU_DEP_2) | instskip(SKIP_1) | instid1(VALU_DEP_2)
	v_add_co_u32 v4, vcc_lo, v4, v11
	s_wait_alu 0xfffd
	v_add_co_ci_u32_e32 v9, vcc_lo, 0, v7, vcc_lo
	s_delay_alu instid0(VALU_DEP_2) | instskip(SKIP_1) | instid1(VALU_DEP_3)
	v_mul_lo_u32 v10, s25, v4
	v_mad_co_u64_u32 v[7:8], null, s24, v4, 0
	v_mul_lo_u32 v11, s24, v9
	s_delay_alu instid0(VALU_DEP_2) | instskip(NEXT) | instid1(VALU_DEP_2)
	v_sub_co_u32 v7, vcc_lo, v5, v7
	v_add3_u32 v8, v8, v11, v10
	s_delay_alu instid0(VALU_DEP_1) | instskip(SKIP_1) | instid1(VALU_DEP_1)
	v_sub_nc_u32_e32 v10, v6, v8
	s_wait_alu 0xfffd
	v_subrev_co_ci_u32_e64 v10, s2, s25, v10, vcc_lo
	v_add_co_u32 v11, s2, v4, 2
	s_wait_alu 0xf1ff
	v_add_co_ci_u32_e64 v12, s2, 0, v9, s2
	v_sub_co_u32 v13, s2, v7, s24
	v_sub_co_ci_u32_e32 v8, vcc_lo, v6, v8, vcc_lo
	s_wait_alu 0xf1ff
	v_subrev_co_ci_u32_e64 v10, s2, 0, v10, s2
	s_delay_alu instid0(VALU_DEP_3) | instskip(NEXT) | instid1(VALU_DEP_3)
	v_cmp_le_u32_e32 vcc_lo, s24, v13
	v_cmp_eq_u32_e64 s2, s25, v8
	s_wait_alu 0xfffd
	v_cndmask_b32_e64 v13, 0, -1, vcc_lo
	v_cmp_le_u32_e32 vcc_lo, s25, v10
	s_wait_alu 0xfffd
	v_cndmask_b32_e64 v14, 0, -1, vcc_lo
	v_cmp_le_u32_e32 vcc_lo, s24, v7
	;; [unrolled: 3-line block ×3, first 2 shown]
	s_wait_alu 0xfffd
	v_cndmask_b32_e64 v15, 0, -1, vcc_lo
	v_cmp_eq_u32_e32 vcc_lo, s25, v10
	s_wait_alu 0xf1ff
	s_delay_alu instid0(VALU_DEP_2)
	v_cndmask_b32_e64 v7, v15, v7, s2
	s_wait_alu 0xfffd
	v_cndmask_b32_e32 v10, v14, v13, vcc_lo
	v_add_co_u32 v13, vcc_lo, v4, 1
	s_wait_alu 0xfffd
	v_add_co_ci_u32_e32 v14, vcc_lo, 0, v9, vcc_lo
	s_delay_alu instid0(VALU_DEP_3) | instskip(SKIP_1) | instid1(VALU_DEP_2)
	v_cmp_ne_u32_e32 vcc_lo, 0, v10
	s_wait_alu 0xfffd
	v_cndmask_b32_e32 v8, v14, v12, vcc_lo
	v_cndmask_b32_e32 v10, v13, v11, vcc_lo
	v_cmp_ne_u32_e32 vcc_lo, 0, v7
	s_wait_alu 0xfffd
	s_delay_alu instid0(VALU_DEP_2)
	v_dual_cndmask_b32 v49, v9, v8 :: v_dual_cndmask_b32 v48, v4, v10
.LBB0_4:                                ;   in Loop: Header=BB0_2 Depth=1
	s_wait_alu 0xfffe
	s_and_not1_saveexec_b32 s2, s26
	s_cbranch_execz .LBB0_6
; %bb.5:                                ;   in Loop: Header=BB0_2 Depth=1
	v_cvt_f32_u32_e32 v4, s24
	s_sub_co_i32 s26, 0, s24
	v_mov_b32_e32 v49, v3
	s_delay_alu instid0(VALU_DEP_2) | instskip(NEXT) | instid1(TRANS32_DEP_1)
	v_rcp_iflag_f32_e32 v4, v4
	v_mul_f32_e32 v4, 0x4f7ffffe, v4
	s_delay_alu instid0(VALU_DEP_1) | instskip(SKIP_1) | instid1(VALU_DEP_1)
	v_cvt_u32_f32_e32 v4, v4
	s_wait_alu 0xfffe
	v_mul_lo_u32 v7, s26, v4
	s_delay_alu instid0(VALU_DEP_1) | instskip(NEXT) | instid1(VALU_DEP_1)
	v_mul_hi_u32 v7, v4, v7
	v_add_nc_u32_e32 v4, v4, v7
	s_delay_alu instid0(VALU_DEP_1) | instskip(NEXT) | instid1(VALU_DEP_1)
	v_mul_hi_u32 v4, v5, v4
	v_mul_lo_u32 v7, v4, s24
	v_add_nc_u32_e32 v8, 1, v4
	s_delay_alu instid0(VALU_DEP_2) | instskip(NEXT) | instid1(VALU_DEP_1)
	v_sub_nc_u32_e32 v7, v5, v7
	v_subrev_nc_u32_e32 v9, s24, v7
	v_cmp_le_u32_e32 vcc_lo, s24, v7
	s_wait_alu 0xfffd
	s_delay_alu instid0(VALU_DEP_2) | instskip(NEXT) | instid1(VALU_DEP_1)
	v_dual_cndmask_b32 v7, v7, v9 :: v_dual_cndmask_b32 v4, v4, v8
	v_cmp_le_u32_e32 vcc_lo, s24, v7
	s_delay_alu instid0(VALU_DEP_2) | instskip(SKIP_1) | instid1(VALU_DEP_1)
	v_add_nc_u32_e32 v8, 1, v4
	s_wait_alu 0xfffd
	v_cndmask_b32_e32 v48, v4, v8, vcc_lo
.LBB0_6:                                ;   in Loop: Header=BB0_2 Depth=1
	s_wait_alu 0xfffe
	s_or_b32 exec_lo, exec_lo, s2
	v_mul_lo_u32 v4, v49, s24
	s_delay_alu instid0(VALU_DEP_2)
	v_mul_lo_u32 v9, v48, s25
	s_load_b64 s[26:27], s[18:19], 0x0
	v_mad_co_u64_u32 v[7:8], null, v48, s24, 0
	s_load_b64 s[24:25], s[16:17], 0x0
	s_add_nc_u64 s[20:21], s[20:21], 1
	s_add_nc_u64 s[16:17], s[16:17], 8
	s_wait_alu 0xfffe
	v_cmp_ge_u64_e64 s2, s[20:21], s[10:11]
	s_add_nc_u64 s[18:19], s[18:19], 8
	s_add_nc_u64 s[22:23], s[22:23], 8
	v_add3_u32 v4, v8, v9, v4
	v_sub_co_u32 v5, vcc_lo, v5, v7
	s_wait_alu 0xfffd
	s_delay_alu instid0(VALU_DEP_2) | instskip(SKIP_2) | instid1(VALU_DEP_1)
	v_sub_co_ci_u32_e32 v4, vcc_lo, v6, v4, vcc_lo
	s_and_b32 vcc_lo, exec_lo, s2
	s_wait_kmcnt 0x0
	v_mul_lo_u32 v6, s26, v4
	v_mul_lo_u32 v7, s27, v5
	v_mad_co_u64_u32 v[1:2], null, s26, v5, v[1:2]
	v_mul_lo_u32 v4, s24, v4
	v_mul_lo_u32 v8, s25, v5
	v_mad_co_u64_u32 v[44:45], null, s24, v5, v[44:45]
	s_delay_alu instid0(VALU_DEP_4) | instskip(NEXT) | instid1(VALU_DEP_2)
	v_add3_u32 v2, v7, v2, v6
	v_add3_u32 v45, v8, v45, v4
	s_wait_alu 0xfffe
	s_cbranch_vccnz .LBB0_9
; %bb.7:                                ;   in Loop: Header=BB0_2 Depth=1
	v_dual_mov_b32 v5, v48 :: v_dual_mov_b32 v6, v49
	s_branch .LBB0_2
.LBB0_8:
	v_dual_mov_b32 v45, v2 :: v_dual_mov_b32 v44, v1
	v_dual_mov_b32 v49, v6 :: v_dual_mov_b32 v48, v5
.LBB0_9:
	s_load_b64 s[0:1], s[0:1], 0x28
	v_mul_hi_u32 v3, 0x4104105, v0
	s_lshl_b64 s[10:11], s[10:11], 3
                                        ; implicit-def: $vgpr46
	s_wait_alu 0xfffe
	s_add_nc_u64 s[2:3], s[14:15], s[10:11]
	s_wait_kmcnt 0x0
	v_cmp_gt_u64_e32 vcc_lo, s[0:1], v[48:49]
	v_cmp_le_u64_e64 s0, s[0:1], v[48:49]
	s_delay_alu instid0(VALU_DEP_1)
	s_and_saveexec_b32 s1, s0
	s_wait_alu 0xfffe
	s_xor_b32 s0, exec_lo, s1
; %bb.10:
	v_mul_u32_u24_e32 v1, 63, v3
                                        ; implicit-def: $vgpr3
	s_delay_alu instid0(VALU_DEP_1)
	v_sub_nc_u32_e32 v46, v0, v1
                                        ; implicit-def: $vgpr0
                                        ; implicit-def: $vgpr1_vgpr2
; %bb.11:
	s_wait_alu 0xfffe
	s_or_saveexec_b32 s1, s0
	s_load_b64 s[2:3], s[2:3], 0x0
	s_xor_b32 exec_lo, exec_lo, s1
	s_cbranch_execz .LBB0_15
; %bb.12:
	s_add_nc_u64 s[10:11], s[12:13], s[10:11]
	v_lshlrev_b64_e32 v[1:2], 3, v[1:2]
	s_load_b64 s[10:11], s[10:11], 0x0
	s_wait_kmcnt 0x0
	v_mul_lo_u32 v6, s11, v48
	v_mul_lo_u32 v7, s10, v49
	v_mad_co_u64_u32 v[4:5], null, s10, v48, 0
	s_delay_alu instid0(VALU_DEP_1) | instskip(SKIP_1) | instid1(VALU_DEP_2)
	v_add3_u32 v5, v5, v7, v6
	v_mul_u32_u24_e32 v6, 63, v3
	v_lshlrev_b64_e32 v[3:4], 3, v[4:5]
	s_delay_alu instid0(VALU_DEP_2) | instskip(NEXT) | instid1(VALU_DEP_1)
	v_sub_nc_u32_e32 v46, v0, v6
	v_lshlrev_b32_e32 v42, 3, v46
	s_delay_alu instid0(VALU_DEP_3) | instskip(SKIP_1) | instid1(VALU_DEP_4)
	v_add_co_u32 v0, s0, s4, v3
	s_wait_alu 0xf1ff
	v_add_co_ci_u32_e64 v3, s0, s5, v4, s0
	s_mov_b32 s4, exec_lo
	s_delay_alu instid0(VALU_DEP_2) | instskip(SKIP_1) | instid1(VALU_DEP_2)
	v_add_co_u32 v0, s0, v0, v1
	s_wait_alu 0xf1ff
	v_add_co_ci_u32_e64 v1, s0, v3, v2, s0
	s_delay_alu instid0(VALU_DEP_2) | instskip(SKIP_1) | instid1(VALU_DEP_2)
	v_add_co_u32 v2, s0, v0, v42
	s_wait_alu 0xf1ff
	v_add_co_ci_u32_e64 v3, s0, 0, v1, s0
	s_clause 0x13
	global_load_b64 v[4:5], v[2:3], off
	global_load_b64 v[6:7], v[2:3], off offset:504
	global_load_b64 v[8:9], v[2:3], off offset:1008
	;; [unrolled: 1-line block ×19, first 2 shown]
	v_add_nc_u32_e32 v42, 0, v42
	s_delay_alu instid0(VALU_DEP_1)
	v_add_nc_u32_e32 v43, 0x400, v42
	v_add_nc_u32_e32 v47, 0x800, v42
	;; [unrolled: 1-line block ×8, first 2 shown]
	s_wait_loadcnt 0x12
	ds_store_2addr_b64 v42, v[4:5], v[6:7] offset1:63
	s_wait_loadcnt 0x10
	ds_store_2addr_b64 v42, v[8:9], v[10:11] offset0:126 offset1:189
	s_wait_loadcnt 0xe
	ds_store_2addr_b64 v43, v[12:13], v[14:15] offset0:124 offset1:187
	;; [unrolled: 2-line block ×9, first 2 shown]
	v_cmpx_eq_u32_e32 62, v46
	s_cbranch_execz .LBB0_14
; %bb.13:
	global_load_b64 v[0:1], v[0:1], off offset:10080
	v_mov_b32_e32 v2, 0
	v_mov_b32_e32 v46, 62
	s_wait_loadcnt 0x0
	ds_store_b64 v2, v[0:1] offset:10080
.LBB0_14:
	s_wait_alu 0xfffe
	s_or_b32 exec_lo, exec_lo, s4
.LBB0_15:
	s_delay_alu instid0(SALU_CYCLE_1)
	s_or_b32 exec_lo, exec_lo, s1
	v_lshlrev_b32_e32 v0, 3, v46
	global_wb scope:SCOPE_SE
	s_wait_dscnt 0x0
	s_wait_kmcnt 0x0
	s_barrier_signal -1
	s_barrier_wait -1
	global_inv scope:SCOPE_SE
	v_add_nc_u32_e32 v52, 0, v0
	v_sub_nc_u32_e32 v4, 0, v0
	s_mov_b32 s1, exec_lo
                                        ; implicit-def: $vgpr2_vgpr3
	ds_load_b32 v5, v52
	ds_load_b32 v6, v4 offset:10080
	s_wait_dscnt 0x0
	v_dual_sub_f32 v1, v5, v6 :: v_dual_add_f32 v0, v6, v5
	v_cmpx_ne_u32_e32 0, v46
	s_wait_alu 0xfffe
	s_xor_b32 s1, exec_lo, s1
	s_cbranch_execz .LBB0_17
; %bb.16:
	v_dual_mov_b32 v47, 0 :: v_dual_sub_f32 v8, v5, v6
	s_delay_alu instid0(VALU_DEP_1) | instskip(NEXT) | instid1(VALU_DEP_1)
	v_lshlrev_b64_e32 v[0:1], 3, v[46:47]
	v_add_co_u32 v0, s0, s8, v0
	s_wait_alu 0xf1ff
	s_delay_alu instid0(VALU_DEP_2)
	v_add_co_ci_u32_e64 v1, s0, s9, v1, s0
	global_load_b64 v[2:3], v[0:1], off offset:10064
	ds_load_b32 v0, v4 offset:10084
	ds_load_b32 v1, v52 offset:4
	v_add_f32_e32 v7, v6, v5
	s_wait_dscnt 0x0
	v_dual_add_f32 v9, v0, v1 :: v_dual_sub_f32 v0, v1, v0
	s_wait_loadcnt 0x0
	s_delay_alu instid0(VALU_DEP_2) | instskip(NEXT) | instid1(VALU_DEP_2)
	v_fma_f32 v5, -v8, v3, v7
	v_fma_f32 v6, v9, v3, -v0
	v_fma_f32 v10, v8, v3, v7
	v_fma_f32 v1, v9, v3, v0
	s_delay_alu instid0(VALU_DEP_3) | instskip(NEXT) | instid1(VALU_DEP_3)
	v_dual_fmac_f32 v5, v2, v9 :: v_dual_fmac_f32 v6, v8, v2
	v_fma_f32 v0, -v2, v9, v10
	s_delay_alu instid0(VALU_DEP_3)
	v_dual_fmac_f32 v1, v8, v2 :: v_dual_mov_b32 v2, v46
	v_mov_b32_e32 v3, v47
	ds_store_b64 v4, v[5:6] offset:10080
.LBB0_17:
	s_wait_alu 0xfffe
	s_and_not1_saveexec_b32 s0, s1
	s_cbranch_execz .LBB0_19
; %bb.18:
	v_mov_b32_e32 v7, 0
	ds_load_b64 v[2:3], v7 offset:5040
	s_wait_dscnt 0x0
	v_dual_mul_f32 v6, -2.0, v3 :: v_dual_add_f32 v5, v2, v2
	v_mov_b32_e32 v2, 0
	v_mov_b32_e32 v3, 0
	ds_store_b64 v7, v[5:6] offset:5040
.LBB0_19:
	s_wait_alu 0xfffe
	s_or_b32 exec_lo, exec_lo, s0
	v_lshlrev_b64_e32 v[2:3], 3, v[2:3]
	s_add_nc_u64 s[0:1], s[8:9], 0x2750
	v_lshl_add_u32 v66, v46, 3, v52
	v_add_nc_u32_e32 v42, 0xbd, v46
	v_add_nc_u32_e32 v50, 0x17a, v46
	v_add_nc_u32_e32 v72, 0x1400, v52
	s_wait_alu 0xfffe
	v_add_co_u32 v2, s0, s0, v2
	s_wait_alu 0xf1ff
	v_add_co_ci_u32_e64 v3, s0, s1, v3, s0
	s_clause 0x6
	global_load_b64 v[5:6], v[2:3], off offset:504
	global_load_b64 v[7:8], v[2:3], off offset:1008
	;; [unrolled: 1-line block ×7, first 2 shown]
	ds_store_b64 v52, v[0:1]
	ds_load_b64 v[0:1], v52 offset:504
	ds_load_b64 v[19:20], v4 offset:9576
	global_load_b64 v[21:22], v[2:3], off offset:4032
	v_lshl_add_u32 v69, v42, 4, 0
	v_lshl_add_u32 v75, v50, 4, 0
	v_cmp_gt_u32_e64 s0, 42, v46
	v_add_nc_u32_e32 v43, 63, v46
	v_add_nc_u32_e32 v47, 0x7e, v46
	;; [unrolled: 1-line block ×3, first 2 shown]
	v_and_b32_e32 v74, 1, v46
	v_add_nc_u32_e32 v53, 0xfc, v46
	v_lshl_add_u32 v67, v43, 4, 0
	v_lshl_add_u32 v68, v47, 4, 0
	v_and_b32_e32 v80, 1, v42
	v_lshlrev_b32_e32 v78, 3, v74
	v_lshl_add_u32 v70, v53, 4, 0
	s_wait_dscnt 0x0
	v_add_f32_e32 v23, v0, v19
	v_add_f32_e32 v24, v20, v1
	v_dual_sub_f32 v25, v0, v19 :: v_dual_sub_f32 v0, v1, v20
	s_wait_loadcnt 0x7
	s_delay_alu instid0(VALU_DEP_1) | instskip(NEXT) | instid1(VALU_DEP_2)
	v_fma_f32 v26, v25, v6, v23
	v_fma_f32 v1, v24, v6, v0
	v_fma_f32 v19, -v25, v6, v23
	v_fma_f32 v20, v24, v6, -v0
	s_delay_alu instid0(VALU_DEP_4) | instskip(NEXT) | instid1(VALU_DEP_4)
	v_fma_f32 v0, -v5, v24, v26
	v_fmac_f32_e32 v1, v25, v5
	s_delay_alu instid0(VALU_DEP_4) | instskip(NEXT) | instid1(VALU_DEP_4)
	v_fmac_f32_e32 v19, v5, v24
	v_fmac_f32_e32 v20, v25, v5
	ds_store_b64 v52, v[0:1] offset:504
	ds_store_b64 v4, v[19:20] offset:9576
	ds_load_b64 v[0:1], v52 offset:1008
	ds_load_b64 v[5:6], v4 offset:9072
	global_load_b64 v[2:3], v[2:3], off offset:4536
	s_wait_dscnt 0x0
	v_add_f32_e32 v19, v0, v5
	v_add_f32_e32 v20, v6, v1
	v_dual_sub_f32 v23, v0, v5 :: v_dual_sub_f32 v0, v1, v6
	s_wait_loadcnt 0x7
	s_delay_alu instid0(VALU_DEP_1) | instskip(NEXT) | instid1(VALU_DEP_2)
	v_fma_f32 v24, v23, v8, v19
	v_fma_f32 v1, v20, v8, v0
	v_fma_f32 v5, -v23, v8, v19
	v_fma_f32 v6, v20, v8, -v0
	s_delay_alu instid0(VALU_DEP_4) | instskip(NEXT) | instid1(VALU_DEP_4)
	v_fma_f32 v0, -v7, v20, v24
	v_fmac_f32_e32 v1, v23, v7
	s_delay_alu instid0(VALU_DEP_4) | instskip(NEXT) | instid1(VALU_DEP_4)
	v_fmac_f32_e32 v5, v7, v20
	v_fmac_f32_e32 v6, v23, v7
	ds_store_b64 v52, v[0:1] offset:1008
	ds_store_b64 v4, v[5:6] offset:9072
	ds_load_b64 v[0:1], v52 offset:1512
	ds_load_b64 v[5:6], v4 offset:8568
	s_wait_dscnt 0x0
	v_add_f32_e32 v7, v0, v5
	v_add_f32_e32 v8, v6, v1
	v_dual_sub_f32 v19, v0, v5 :: v_dual_sub_f32 v0, v1, v6
	s_wait_loadcnt 0x6
	s_delay_alu instid0(VALU_DEP_1) | instskip(NEXT) | instid1(VALU_DEP_2)
	v_fma_f32 v20, v19, v10, v7
	v_fma_f32 v1, v8, v10, v0
	v_fma_f32 v5, -v19, v10, v7
	v_fma_f32 v6, v8, v10, -v0
	s_delay_alu instid0(VALU_DEP_4) | instskip(NEXT) | instid1(VALU_DEP_4)
	v_fma_f32 v0, -v9, v8, v20
	v_fmac_f32_e32 v1, v19, v9
	s_delay_alu instid0(VALU_DEP_3)
	v_dual_fmac_f32 v5, v9, v8 :: v_dual_fmac_f32 v6, v19, v9
	ds_store_b64 v52, v[0:1] offset:1512
	ds_store_b64 v4, v[5:6] offset:8568
	ds_load_b64 v[0:1], v52 offset:2016
	ds_load_b64 v[5:6], v4 offset:8064
	s_wait_dscnt 0x0
	v_dual_add_f32 v7, v0, v5 :: v_dual_add_nc_u32 v20, 0x1000, v52
	v_add_f32_e32 v8, v6, v1
	v_dual_sub_f32 v9, v0, v5 :: v_dual_sub_f32 v0, v1, v6
	s_wait_loadcnt 0x5
	s_delay_alu instid0(VALU_DEP_1) | instskip(NEXT) | instid1(VALU_DEP_2)
	v_fma_f32 v10, v9, v12, v7
	v_fma_f32 v1, v8, v12, v0
	v_fma_f32 v5, -v9, v12, v7
	v_fma_f32 v6, v8, v12, -v0
	s_delay_alu instid0(VALU_DEP_4) | instskip(NEXT) | instid1(VALU_DEP_4)
	v_fma_f32 v0, -v11, v8, v10
	v_fmac_f32_e32 v1, v9, v11
	s_delay_alu instid0(VALU_DEP_3)
	v_dual_fmac_f32 v5, v11, v8 :: v_dual_fmac_f32 v6, v9, v11
	ds_store_b64 v52, v[0:1] offset:2016
	ds_store_b64 v4, v[5:6] offset:8064
	ds_load_b64 v[0:1], v52 offset:2520
	ds_load_b64 v[5:6], v4 offset:7560
	s_wait_dscnt 0x0
	v_add_f32_e32 v7, v0, v5
	v_add_f32_e32 v8, v6, v1
	v_dual_sub_f32 v9, v0, v5 :: v_dual_sub_f32 v0, v1, v6
	s_wait_loadcnt 0x4
	s_delay_alu instid0(VALU_DEP_1) | instskip(NEXT) | instid1(VALU_DEP_2)
	v_fma_f32 v10, v9, v14, v7
	v_fma_f32 v1, v8, v14, v0
	v_fma_f32 v5, -v9, v14, v7
	v_fma_f32 v6, v8, v14, -v0
	s_delay_alu instid0(VALU_DEP_4) | instskip(NEXT) | instid1(VALU_DEP_4)
	v_fma_f32 v0, -v13, v8, v10
	v_fmac_f32_e32 v1, v9, v13
	s_delay_alu instid0(VALU_DEP_4) | instskip(NEXT) | instid1(VALU_DEP_4)
	v_fmac_f32_e32 v5, v13, v8
	v_fmac_f32_e32 v6, v9, v13
	ds_store_b64 v52, v[0:1] offset:2520
	ds_store_b64 v4, v[5:6] offset:7560
	ds_load_b64 v[0:1], v52 offset:3024
	ds_load_b64 v[5:6], v4 offset:7056
	s_wait_dscnt 0x0
	v_add_f32_e32 v7, v0, v5
	v_add_f32_e32 v8, v6, v1
	v_dual_sub_f32 v9, v0, v5 :: v_dual_sub_f32 v0, v1, v6
	s_wait_loadcnt 0x3
	s_delay_alu instid0(VALU_DEP_1) | instskip(NEXT) | instid1(VALU_DEP_2)
	v_fma_f32 v10, v9, v16, v7
	v_fma_f32 v1, v8, v16, v0
	v_fma_f32 v5, -v9, v16, v7
	v_fma_f32 v6, v8, v16, -v0
	s_delay_alu instid0(VALU_DEP_4) | instskip(NEXT) | instid1(VALU_DEP_4)
	v_fma_f32 v0, -v15, v8, v10
	v_fmac_f32_e32 v1, v9, v15
	s_delay_alu instid0(VALU_DEP_3)
	v_dual_fmac_f32 v5, v15, v8 :: v_dual_fmac_f32 v6, v9, v15
	ds_store_b64 v52, v[0:1] offset:3024
	ds_store_b64 v4, v[5:6] offset:7056
	ds_load_b64 v[0:1], v52 offset:3528
	ds_load_b64 v[5:6], v4 offset:6552
	s_wait_dscnt 0x0
	v_add_f32_e32 v7, v0, v5
	v_add_f32_e32 v8, v6, v1
	v_dual_sub_f32 v9, v0, v5 :: v_dual_sub_f32 v0, v1, v6
	s_wait_loadcnt 0x2
	s_delay_alu instid0(VALU_DEP_1) | instskip(NEXT) | instid1(VALU_DEP_2)
	v_fma_f32 v10, v9, v18, v7
	v_fma_f32 v1, v8, v18, v0
	v_fma_f32 v5, -v9, v18, v7
	v_fma_f32 v6, v8, v18, -v0
	s_delay_alu instid0(VALU_DEP_4) | instskip(NEXT) | instid1(VALU_DEP_4)
	v_fma_f32 v0, -v17, v8, v10
	v_fmac_f32_e32 v1, v9, v17
	s_delay_alu instid0(VALU_DEP_4) | instskip(NEXT) | instid1(VALU_DEP_4)
	v_fmac_f32_e32 v5, v17, v8
	v_fmac_f32_e32 v6, v9, v17
	ds_store_b64 v52, v[0:1] offset:3528
	ds_store_b64 v4, v[5:6] offset:6552
	ds_load_b64 v[0:1], v52 offset:4032
	ds_load_b64 v[5:6], v4 offset:6048
	s_wait_dscnt 0x0
	v_add_f32_e32 v7, v0, v5
	v_add_f32_e32 v8, v6, v1
	v_dual_sub_f32 v9, v0, v5 :: v_dual_sub_f32 v0, v1, v6
	s_wait_loadcnt 0x1
	s_delay_alu instid0(VALU_DEP_1) | instskip(NEXT) | instid1(VALU_DEP_2)
	v_fma_f32 v10, v9, v22, v7
	v_fma_f32 v1, v8, v22, v0
	v_fma_f32 v5, -v9, v22, v7
	v_fma_f32 v6, v8, v22, -v0
	s_delay_alu instid0(VALU_DEP_4) | instskip(NEXT) | instid1(VALU_DEP_4)
	v_fma_f32 v0, -v21, v8, v10
	v_fmac_f32_e32 v1, v9, v21
	s_delay_alu instid0(VALU_DEP_4) | instskip(NEXT) | instid1(VALU_DEP_4)
	v_fmac_f32_e32 v5, v21, v8
	v_fmac_f32_e32 v6, v9, v21
	ds_store_b64 v52, v[0:1] offset:4032
	ds_store_b64 v4, v[5:6] offset:6048
	ds_load_b64 v[0:1], v52 offset:4536
	ds_load_b64 v[9:10], v4 offset:5544
	v_add_nc_u32_e32 v8, 0x800, v52
	s_wait_dscnt 0x0
	v_dual_add_f32 v11, v0, v9 :: v_dual_add_nc_u32 v6, 0x1c00, v52
	v_add_f32_e32 v12, v10, v1
	v_dual_sub_f32 v13, v0, v9 :: v_dual_sub_f32 v0, v1, v10
	s_wait_loadcnt 0x0
	s_delay_alu instid0(VALU_DEP_1) | instskip(NEXT) | instid1(VALU_DEP_2)
	v_fma_f32 v14, v13, v3, v11
	v_fma_f32 v1, v12, v3, v0
	v_fma_f32 v9, -v13, v3, v11
	v_fma_f32 v10, v12, v3, -v0
	v_add_nc_u32_e32 v5, 0x400, v52
	v_fma_f32 v0, -v2, v12, v14
	v_fmac_f32_e32 v1, v13, v2
	s_delay_alu instid0(VALU_DEP_4)
	v_dual_fmac_f32 v9, v2, v12 :: v_dual_fmac_f32 v10, v13, v2
	ds_store_b64 v52, v[0:1] offset:4536
	ds_store_b64 v4, v[9:10] offset:5544
	global_wb scope:SCOPE_SE
	s_wait_dscnt 0x0
	s_barrier_signal -1
	s_barrier_wait -1
	global_inv scope:SCOPE_SE
	global_wb scope:SCOPE_SE
	s_barrier_signal -1
	s_barrier_wait -1
	global_inv scope:SCOPE_SE
	ds_load_2addr_b64 v[0:3], v52 offset1:63
	ds_load_2addr_b64 v[9:12], v20 offset0:118 offset1:181
	ds_load_2addr_b64 v[13:16], v52 offset0:126 offset1:189
	ds_load_2addr_b64 v[21:24], v72 offset0:116 offset1:179
	v_add_nc_u32_e32 v7, 0x1800, v52
	v_add_nc_u32_e32 v73, 0xc00, v52
	;; [unrolled: 1-line block ×4, first 2 shown]
	s_wait_dscnt 0x2
	v_sub_f32_e32 v10, v1, v10
	ds_load_2addr_b64 v[25:28], v5 offset0:124 offset1:187
	ds_load_2addr_b64 v[33:36], v7 offset0:114 offset1:177
	;; [unrolled: 1-line block ×4, first 2 shown]
	s_wait_dscnt 0x4
	v_sub_f32_e32 v18, v14, v22
	v_sub_f32_e32 v22, v16, v24
	ds_load_2addr_b64 v[58:61], v73 offset0:120 offset1:183
	ds_load_2addr_b64 v[62:65], v32 offset0:110 offset1:173
	v_add_nc_u32_e32 v41, 0x237, v46
	v_sub_f32_e32 v9, v0, v9
	v_dual_sub_f32 v11, v2, v11 :: v_dual_sub_f32 v12, v3, v12
	v_and_b32_e32 v81, 1, v51
	v_sub_f32_e32 v17, v13, v21
	v_sub_f32_e32 v21, v15, v23
	v_add_nc_u32_e32 v31, 0x1f8, v46
	v_fma_f32 v0, v0, 2.0, -v9
	v_fma_f32 v1, v1, 2.0, -v10
	;; [unrolled: 1-line block ×7, first 2 shown]
	s_wait_dscnt 0x4
	v_sub_f32_e32 v30, v28, v36
	v_sub_f32_e32 v24, v26, v34
	s_wait_dscnt 0x2
	v_dual_sub_f32 v34, v38, v55 :: v_dual_and_b32 v79, 1, v41
	v_sub_f32_e32 v23, v25, v33
	v_sub_f32_e32 v29, v27, v35
	;; [unrolled: 1-line block ×3, first 2 shown]
	v_dual_sub_f32 v35, v39, v56 :: v_dual_sub_f32 v36, v40, v57
	s_wait_dscnt 0x0
	v_dual_sub_f32 v54, v58, v62 :: v_dual_sub_f32 v55, v59, v63
	v_dual_sub_f32 v56, v60, v64 :: v_dual_sub_f32 v57, v61, v65
	v_lshlrev_b32_e32 v82, 3, v79
	v_fma_f32 v2, v2, 2.0, -v11
	v_fma_f32 v25, v25, 2.0, -v23
	;; [unrolled: 1-line block ×3, first 2 shown]
	v_lshl_add_u32 v71, v51, 4, 0
	v_lshl_add_u32 v76, v19, 4, 0
	;; [unrolled: 1-line block ×4, first 2 shown]
	global_wb scope:SCOPE_SE
	s_barrier_signal -1
	s_barrier_wait -1
	global_inv scope:SCOPE_SE
	v_fma_f32 v27, v27, 2.0, -v29
	v_fma_f32 v28, v28, 2.0, -v30
	;; [unrolled: 1-line block ×10, first 2 shown]
	ds_store_2addr_b64 v66, v[0:1], v[9:10] offset1:1
	ds_store_2addr_b64 v67, v[2:3], v[11:12] offset1:1
	ds_store_2addr_b64 v68, v[13:14], v[17:18] offset1:1
	ds_store_2addr_b64 v69, v[15:16], v[21:22] offset1:1
	ds_store_2addr_b64 v70, v[25:26], v[23:24] offset1:1
	ds_store_2addr_b64 v71, v[27:28], v[29:30] offset1:1
	ds_store_2addr_b64 v75, v[37:38], v[33:34] offset1:1
	ds_store_2addr_b64 v76, v[39:40], v[35:36] offset1:1
	ds_store_2addr_b64 v4, v[58:59], v[54:55] offset1:1
	ds_store_2addr_b64 v77, v[60:61], v[56:57] offset1:1
	v_lshlrev_b32_e32 v0, 3, v80
	global_wb scope:SCOPE_SE
	s_wait_dscnt 0x0
	s_barrier_signal -1
	s_barrier_wait -1
	global_inv scope:SCOPE_SE
	s_clause 0x1
	global_load_b64 v[17:18], v78, s[8:9]
	global_load_b64 v[29:30], v82, s[8:9]
	v_and_b32_e32 v1, 1, v19
	v_lshlrev_b32_e32 v2, 3, v81
	global_load_b64 v[66:67], v0, s[8:9]
	v_and_b32_e32 v0, 1, v43
	v_lshlrev_b32_e32 v10, 1, v42
	v_lshlrev_b32_e32 v3, 3, v1
	s_clause 0x1
	global_load_b64 v[68:69], v2, s[8:9]
	global_load_b64 v[70:71], v3, s[8:9]
	v_lshlrev_b32_e32 v2, 3, v0
	s_clause 0x1
	global_load_b32 v4, v82, s[8:9] offset:4
	global_load_b32 v75, v2, s[8:9]
	v_lshlrev_b32_e32 v2, 1, v46
	v_lshlrev_b32_e32 v3, 1, v43
	;; [unrolled: 1-line block ×5, first 2 shown]
	v_and_or_b32 v2, 0x7c, v2, v74
	v_lshlrev_b32_e32 v13, 1, v50
	v_lshlrev_b32_e32 v14, 1, v19
	;; [unrolled: 1-line block ×4, first 2 shown]
	v_lshl_add_u32 v19, v2, 3, 0
	v_and_or_b32 v0, 0xfc, v3, v0
	v_and_or_b32 v2, 0x1fc, v9, v74
	;; [unrolled: 1-line block ×9, first 2 shown]
	v_lshl_add_u32 v31, v0, 3, 0
	v_lshl_add_u32 v74, v2, 3, 0
	v_lshl_add_u32 v76, v3, 3, 0
	ds_load_2addr_b64 v[0:3], v20 offset0:118 offset1:181
	v_lshl_add_u32 v77, v9, 3, 0
	v_lshl_add_u32 v78, v10, 3, 0
	v_lshl_add_u32 v79, v11, 3, 0
	ds_load_2addr_b64 v[9:12], v72 offset0:116 offset1:179
	;; [unrolled: 4-line block ×3, first 2 shown]
	ds_load_2addr_b64 v[21:24], v52 offset1:63
	ds_load_2addr_b64 v[25:28], v52 offset0:126 offset1:189
	ds_load_2addr_b64 v[33:36], v5 offset0:124 offset1:187
	;; [unrolled: 1-line block ×6, first 2 shown]
	global_wb scope:SCOPE_SE
	s_wait_loadcnt_dscnt 0x0
	s_barrier_signal -1
	s_barrier_wait -1
	global_inv scope:SCOPE_SE
	v_dual_mul_f32 v92, v63, v18 :: v_dual_mul_f32 v41, v18, v1
	v_mul_f32_e32 v82, v30, v3
	v_dual_mul_f32 v84, v18, v9 :: v_dual_mul_f32 v85, v67, v12
	v_dual_mul_f32 v90, v37, v18 :: v_dual_mul_f32 v67, v67, v11
	v_mul_f32_e32 v30, v30, v2
	v_mul_f32_e32 v73, v18, v0
	;; [unrolled: 1-line block ×4, first 2 shown]
	v_dual_mul_f32 v88, v16, v69 :: v_dual_mul_f32 v93, v62, v18
	v_fmac_f32_e32 v84, v17, v10
	v_dual_mul_f32 v87, v13, v18 :: v_dual_fmac_f32 v90, v38, v17
	v_fma_f32 v2, v75, v2, -v82
	v_mul_f32_e32 v91, v40, v71
	v_fmac_f32_e32 v67, v66, v12
	v_dual_mul_f32 v89, v38, v18 :: v_dual_mul_f32 v18, v65, v4
	v_mul_f32_e32 v4, v64, v4
	v_fma_f32 v0, v17, v0, -v41
	v_mul_f32_e32 v69, v15, v69
	v_sub_f32_e32 v2, v23, v2
	v_fma_f32 v38, v39, v70, -v91
	v_fmac_f32_e32 v30, v75, v3
	v_sub_f32_e32 v0, v21, v0
	v_fmac_f32_e32 v69, v16, v68
	v_mul_f32_e32 v71, v39, v71
	v_fma_f32 v39, v62, v17, -v92
	v_fma_f32 v62, v64, v29, -v18
	v_fmac_f32_e32 v4, v65, v29
	v_sub_f32_e32 v16, v36, v69
	v_dual_fmac_f32 v71, v40, v70 :: v_dual_sub_f32 v10, v26, v84
	v_fmac_f32_e32 v87, v14, v17
	v_sub_f32_e32 v29, v56, v38
	v_dual_sub_f32 v38, v60, v62 :: v_dual_fmac_f32 v73, v17, v1
	v_fma_f32 v9, v17, v9, -v83
	s_delay_alu instid0(VALU_DEP_4)
	v_sub_f32_e32 v14, v34, v87
	v_fma_f32 v11, v66, v11, -v85
	v_fma_f32 v13, v13, v17, -v86
	;; [unrolled: 1-line block ×3, first 2 shown]
	v_sub_f32_e32 v1, v22, v73
	v_sub_f32_e32 v3, v24, v30
	v_sub_f32_e32 v18, v55, v90
	v_sub_f32_e32 v12, v28, v67
	v_fma_f32 v37, v37, v17, -v89
	v_dual_sub_f32 v30, v57, v71 :: v_dual_fmac_f32 v93, v63, v17
	v_sub_f32_e32 v9, v25, v9
	v_sub_f32_e32 v11, v27, v11
	;; [unrolled: 1-line block ×5, first 2 shown]
	v_dual_sub_f32 v40, v58, v39 :: v_dual_sub_f32 v41, v59, v93
	v_sub_f32_e32 v39, v61, v4
	v_fma_f32 v21, v21, 2.0, -v0
	v_fma_f32 v22, v22, 2.0, -v1
	;; [unrolled: 1-line block ×20, first 2 shown]
	ds_store_2addr_b64 v19, v[21:22], v[0:1] offset1:2
	ds_store_2addr_b64 v31, v[23:24], v[2:3] offset1:2
	;; [unrolled: 1-line block ×10, first 2 shown]
	global_wb scope:SCOPE_SE
	s_wait_dscnt 0x0
	s_barrier_signal -1
	s_barrier_wait -1
	global_inv scope:SCOPE_SE
	ds_load_2addr_b64 v[0:3], v52 offset1:63
	ds_load_2addr_b64 v[16:19], v8 offset0:164 offset1:227
	ds_load_2addr_b64 v[12:15], v7 offset0:72 offset1:135
	;; [unrolled: 1-line block ×8, first 2 shown]
                                        ; implicit-def: $vgpr41
	s_and_saveexec_b32 s1, s0
	s_cbranch_execz .LBB0_21
; %bb.20:
	ds_load_b64 v[36:37], v52 offset:3024
	ds_load_b64 v[38:39], v52 offset:6384
	;; [unrolled: 1-line block ×3, first 2 shown]
.LBB0_21:
	s_wait_alu 0xfffe
	s_or_b32 exec_lo, exec_lo, s1
	v_and_b32_e32 v75, 3, v46
	v_lshrrev_b32_e32 v85, 2, v43
	v_and_b32_e32 v79, 3, v43
	v_lshrrev_b32_e32 v87, 2, v42
	v_lshrrev_b32_e32 v89, 2, v51
	v_lshlrev_b32_e32 v55, 4, v75
	v_mul_u32_u24_e32 v85, 12, v85
	v_lshlrev_b32_e32 v81, 4, v79
	v_mul_u32_u24_e32 v87, 12, v87
	v_mul_u32_u24_e32 v89, 12, v89
	global_load_b128 v[55:58], v55, s[8:9] offset:16
	v_and_b32_e32 v76, 3, v51
	v_or_b32_e32 v79, v85, v79
	v_and_b32_e32 v54, 3, v50
	v_lshrrev_b32_e32 v84, 2, v46
	v_lshrrev_b32_e32 v86, 2, v47
	;; [unrolled: 1-line block ×3, first 2 shown]
	v_lshl_add_u32 v79, v79, 3, 0
	s_delay_alu instid0(VALU_DEP_4) | instskip(NEXT) | instid1(VALU_DEP_4)
	v_mul_u32_u24_e32 v84, 12, v84
	v_mul_u32_u24_e32 v86, 12, v86
	s_delay_alu instid0(VALU_DEP_4)
	v_mul_u32_u24_e32 v88, 12, v88
	s_wait_loadcnt_dscnt 0x7
	v_mul_f32_e32 v85, v56, v17
	v_lshlrev_b32_e32 v71, 4, v76
	v_or_b32_e32 v76, v89, v76
	s_clause 0x1
	global_load_b64 v[63:64], v71, s[8:9] offset:16
	global_load_b64 v[65:66], v71, s[8:9] offset:24
	v_and_b32_e32 v77, 3, v42
	v_lshl_add_u32 v76, v76, 3, 0
	s_wait_dscnt 0x1
	v_mul_f32_e32 v95, v21, v56
	s_wait_loadcnt 0x1
	v_mul_f32_e32 v89, v64, v19
	s_wait_loadcnt 0x0
	v_dual_mul_f32 v90, v66, v15 :: v_dual_lshlrev_b32 v59, 4, v77
	v_mul_f32_e32 v66, v66, v14
	v_or_b32_e32 v77, v87, v77
	v_dual_mul_f32 v87, v58, v13 :: v_dual_lshlrev_b32 v78, 4, v54
	s_clause 0x2
	global_load_b64 v[67:68], v78, s[8:9] offset:16
	global_load_b64 v[69:70], v78, s[8:9] offset:24
	global_load_b128 v[59:62], v59, s[8:9] offset:16
	v_and_b32_e32 v82, 3, v47
	v_mul_f32_e32 v64, v64, v18
	s_clause 0x2
	global_load_b32 v80, v71, s[8:9] offset:28
	global_load_b64 v[71:72], v71, s[8:9] offset:20
	global_load_b64 v[73:74], v78, s[8:9] offset:20
	s_wait_dscnt 0x0
	v_mul_f32_e32 v96, v33, v58
	v_lshl_add_u32 v77, v77, 3, 0
	s_wait_loadcnt 0x5
	v_mul_f32_e32 v91, v68, v29
	s_wait_loadcnt 0x4
	v_dual_mul_f32 v92, v70, v25 :: v_dual_lshlrev_b32 v83, 4, v82
	v_mul_f32_e32 v70, v70, v24
	s_clause 0x1
	global_load_b32 v78, v78, s[8:9] offset:28
	global_load_b32 v81, v81, s[8:9] offset:16
	v_or_b32_e32 v82, v86, v82
	global_load_b32 v83, v83, s[8:9] offset:16
	v_mul_f32_e32 v86, v56, v16
	v_or_b32_e32 v84, v84, v75
	v_or_b32_e32 v75, v88, v75
	s_wait_loadcnt 0x6
	v_dual_mul_f32 v88, v58, v12 :: v_dual_mul_f32 v93, v60, v31
	v_mul_f32_e32 v94, v27, v62
	s_wait_loadcnt 0x4
	v_dual_mul_f32 v62, v26, v62 :: v_dual_mul_f32 v97, v23, v71
	v_fma_f32 v16, v55, v16, -v85
	v_fma_f32 v12, v57, v12, -v87
	v_mul_f32_e32 v68, v68, v28
	v_mul_f32_e32 v60, v60, v30
	v_dual_mul_f32 v56, v20, v56 :: v_dual_mul_f32 v71, v22, v71
	v_mul_f32_e32 v58, v32, v58
	v_fmac_f32_e32 v86, v55, v17
	s_wait_loadcnt 0x3
	v_fma_f32 v17, v74, v24, -v92
	v_fmac_f32_e32 v66, v72, v15
	v_fma_f32 v15, v59, v30, -v93
	v_mul_f32_e32 v99, v39, v73
	v_mul_f32_e32 v73, v38, v73
	v_fmac_f32_e32 v58, v33, v57
	v_fma_f32 v14, v72, v14, -v90
	v_fma_f32 v20, v20, v55, -v95
	;; [unrolled: 1-line block ×4, first 2 shown]
	v_lshl_add_u32 v84, v84, 3, 0
	v_lshl_add_u32 v82, v82, 3, 0
	global_wb scope:SCOPE_SE
	s_wait_loadcnt 0x0
	s_barrier_signal -1
	s_barrier_wait -1
	global_inv scope:SCOPE_SE
	v_lshl_add_u32 v75, v75, 3, 0
	v_fmac_f32_e32 v73, v39, v67
	v_fmac_f32_e32 v71, v23, v63
	v_dual_add_f32 v67, v4, v20 :: v_dual_mul_f32 v100, v41, v78
	v_fmac_f32_e32 v64, v81, v19
	v_fma_f32 v19, v26, v61, -v94
	v_fmac_f32_e32 v70, v74, v25
	v_dual_fmac_f32 v62, v27, v61 :: v_dual_add_f32 v27, v16, v12
	v_fmac_f32_e32 v88, v57, v13
	v_fma_f32 v13, v83, v28, -v91
	v_fmac_f32_e32 v56, v21, v55
	v_fma_f32 v21, v32, v57, -v96
	v_add_f32_e32 v61, v15, v19
	v_fma_f32 v18, v81, v18, -v89
	v_sub_f32_e32 v57, v13, v17
	v_fmac_f32_e32 v68, v83, v29
	v_dual_fmac_f32 v60, v59, v31 :: v_dual_sub_f32 v31, v16, v12
	v_dual_mul_f32 v98, v35, v80 :: v_dual_add_f32 v29, v1, v86
	v_mul_f32_e32 v80, v34, v80
	v_fma_f32 v25, v40, v69, -v100
	v_dual_add_f32 v26, v0, v16 :: v_dual_add_f32 v81, v6, v22
	s_delay_alu instid0(VALU_DEP_4) | instskip(NEXT) | instid1(VALU_DEP_4)
	v_fma_f32 v23, v34, v65, -v98
	v_dual_fmac_f32 v80, v35, v65 :: v_dual_add_f32 v35, v64, v66
	v_dual_mul_f32 v78, v40, v78 :: v_dual_add_f32 v39, v9, v68
	s_delay_alu instid0(VALU_DEP_2) | instskip(SKIP_1) | instid1(VALU_DEP_3)
	v_dual_add_f32 v16, v2, v18 :: v_dual_sub_f32 v85, v71, v80
	v_add_f32_e32 v32, v18, v14
	v_dual_fmac_f32 v78, v41, v69 :: v_dual_sub_f32 v65, v15, v19
	v_dual_sub_f32 v33, v64, v66 :: v_dual_add_f32 v30, v86, v88
	v_dual_add_f32 v34, v3, v64 :: v_dual_add_f32 v83, v22, v23
	v_dual_sub_f32 v40, v18, v14 :: v_dual_add_f32 v89, v36, v24
	v_dual_add_f32 v18, v8, v13 :: v_dual_sub_f32 v87, v22, v23
	v_sub_f32_e32 v41, v68, v70
	v_add_f32_e32 v55, v68, v70
	v_add_f32_e32 v59, v10, v15
	v_dual_sub_f32 v63, v60, v62 :: v_dual_add_f32 v64, v11, v60
	v_dual_add_f32 v72, v5, v56 :: v_dual_sub_f32 v93, v24, v25
	v_dual_sub_f32 v28, v86, v88 :: v_dual_sub_f32 v69, v56, v58
	v_dual_add_f32 v38, v13, v17 :: v_dual_add_f32 v15, v34, v66
	v_dual_add_f32 v68, v20, v21 :: v_dual_fmac_f32 v3, -0.5, v35
	v_dual_sub_f32 v74, v20, v21 :: v_dual_sub_f32 v91, v73, v78
	v_add_f32_e32 v92, v37, v73
	v_dual_add_f32 v73, v73, v78 :: v_dual_add_f32 v86, v7, v71
	v_fma_f32 v1, -0.5, v30, v1
	v_add_f32_e32 v14, v16, v14
	v_dual_add_f32 v20, v67, v21 :: v_dual_add_f32 v21, v72, v58
	v_add_f32_e32 v16, v18, v17
	v_dual_add_f32 v18, v59, v19 :: v_dual_add_f32 v19, v64, v62
	;; [unrolled: 2-line block ×3, first 2 shown]
	v_dual_add_f32 v56, v56, v58 :: v_dual_add_f32 v71, v71, v80
	v_fma_f32 v0, -0.5, v27, v0
	s_delay_alu instid0(VALU_DEP_3)
	v_fmac_f32_e32 v11, -0.5, v60
	v_fma_f32 v8, -0.5, v38, v8
	v_fma_f32 v9, -0.5, v55, v9
	v_fma_f32 v10, -0.5, v61, v10
	v_fma_f32 v4, -0.5, v68, v4
	v_dual_add_f32 v22, v81, v23 :: v_dual_add_f32 v23, v86, v80
	s_delay_alu instid0(VALU_DEP_4)
	v_dual_fmac_f32 v36, -0.5, v90 :: v_dual_fmamk_f32 v29, v57, 0xbf5db3d7, v9
	v_fmac_f32_e32 v37, -0.5, v73
	v_fma_f32 v2, -0.5, v32, v2
	v_dual_add_f32 v12, v26, v12 :: v_dual_fmac_f32 v7, -0.5, v71
	v_add_f32_e32 v17, v39, v70
	v_fma_f32 v5, -0.5, v56, v5
	v_fma_f32 v6, -0.5, v83, v6
	v_dual_add_f32 v38, v89, v25 :: v_dual_add_f32 v39, v92, v78
	v_dual_fmamk_f32 v24, v28, 0x3f5db3d7, v0 :: v_dual_fmac_f32 v9, 0x3f5db3d7, v57
	v_dual_fmac_f32 v0, 0xbf5db3d7, v28 :: v_dual_fmamk_f32 v25, v31, 0xbf5db3d7, v1
	v_fmamk_f32 v27, v40, 0xbf5db3d7, v3
	v_dual_fmac_f32 v3, 0x3f5db3d7, v40 :: v_dual_fmamk_f32 v28, v41, 0x3f5db3d7, v8
	v_dual_fmac_f32 v8, 0xbf5db3d7, v41 :: v_dual_fmamk_f32 v35, v87, 0xbf5db3d7, v7
	v_dual_fmamk_f32 v30, v63, 0x3f5db3d7, v10 :: v_dual_fmac_f32 v7, 0x3f5db3d7, v87
	v_dual_fmac_f32 v10, 0xbf5db3d7, v63 :: v_dual_fmamk_f32 v41, v93, 0xbf5db3d7, v37
	v_dual_fmamk_f32 v32, v69, 0x3f5db3d7, v4 :: v_dual_fmac_f32 v37, 0x3f5db3d7, v93
	v_fmamk_f32 v40, v91, 0x3f5db3d7, v36
	v_fmac_f32_e32 v36, 0xbf5db3d7, v91
	v_dual_fmac_f32 v1, 0x3f5db3d7, v31 :: v_dual_fmamk_f32 v26, v33, 0x3f5db3d7, v2
	v_dual_fmac_f32 v2, 0xbf5db3d7, v33 :: v_dual_fmamk_f32 v33, v74, 0xbf5db3d7, v5
	v_fmamk_f32 v31, v65, 0xbf5db3d7, v11
	v_fmac_f32_e32 v11, 0x3f5db3d7, v65
	v_fmac_f32_e32 v4, 0xbf5db3d7, v69
	v_dual_fmac_f32 v5, 0x3f5db3d7, v74 :: v_dual_fmamk_f32 v34, v85, 0x3f5db3d7, v6
	v_fmac_f32_e32 v6, 0xbf5db3d7, v85
	ds_store_2addr_b64 v84, v[12:13], v[24:25] offset1:4
	ds_store_b64 v84, v[0:1] offset:64
	ds_store_2addr_b64 v79, v[14:15], v[26:27] offset1:4
	ds_store_b64 v79, v[2:3] offset:64
	;; [unrolled: 2-line block ×6, first 2 shown]
	s_and_saveexec_b32 s1, s0
	s_cbranch_execz .LBB0_23
; %bb.22:
	v_lshrrev_b32_e32 v0, 2, v50
	s_delay_alu instid0(VALU_DEP_1) | instskip(NEXT) | instid1(VALU_DEP_1)
	v_mul_u32_u24_e32 v0, 12, v0
	v_or_b32_e32 v0, v0, v54
	s_delay_alu instid0(VALU_DEP_1)
	v_lshl_add_u32 v0, v0, 3, 0
	ds_store_2addr_b64 v0, v[38:39], v[40:41] offset1:4
	ds_store_b64 v0, v[36:37] offset:64
.LBB0_23:
	s_wait_alu 0xfffe
	s_or_b32 exec_lo, exec_lo, s1
	v_add_nc_u32_e32 v20, 0x1000, v52
	v_add_nc_u32_e32 v4, 0x800, v52
	;; [unrolled: 1-line block ×6, first 2 shown]
	global_wb scope:SCOPE_SE
	s_wait_dscnt 0x0
	s_barrier_signal -1
	s_barrier_wait -1
	global_inv scope:SCOPE_SE
	ds_load_2addr_b64 v[0:3], v52 offset1:63
	ds_load_2addr_b64 v[16:19], v4 offset0:164 offset1:227
	ds_load_2addr_b64 v[12:15], v5 offset0:72 offset1:135
	;; [unrolled: 1-line block ×8, first 2 shown]
	s_and_saveexec_b32 s1, s0
	s_cbranch_execz .LBB0_25
; %bb.24:
	ds_load_b64 v[38:39], v52 offset:3024
	ds_load_b64 v[40:41], v52 offset:6384
	ds_load_b64 v[36:37], v52 offset:9744
.LBB0_25:
	s_wait_alu 0xfffe
	s_or_b32 exec_lo, exec_lo, s1
	v_and_b32_e32 v57, 0xff, v46
	v_and_b32_e32 v56, 0xff, v43
	;; [unrolled: 1-line block ×5, first 2 shown]
	v_mul_lo_u16 v57, 0xab, v57
	v_mul_lo_u16 v58, 0xab, v56
	v_and_b32_e32 v60, 0xffff, v51
	v_mul_lo_u16 v62, 0xab, v54
	v_mul_u32_u24_e32 v68, 0xaaab, v61
	v_lshrrev_b16 v88, 11, v57
	v_lshrrev_b16 v58, 11, v58
	v_mul_lo_u16 v57, 0xab, v55
	v_mul_u32_u24_e32 v60, 0xaaab, v60
	v_lshrrev_b16 v90, 11, v62
	v_mul_lo_u16 v63, v88, 12
	v_mul_lo_u16 v64, v58, 12
	v_lshrrev_b16 v89, 11, v57
	v_lshrrev_b32_e32 v93, 19, v60
	s_delay_alu instid0(VALU_DEP_4) | instskip(NEXT) | instid1(VALU_DEP_4)
	v_sub_nc_u16 v57, v46, v63
	v_sub_nc_u16 v61, v43, v64
	s_delay_alu instid0(VALU_DEP_4) | instskip(NEXT) | instid1(VALU_DEP_3)
	v_mul_lo_u16 v62, v89, 12
	v_and_b32_e32 v91, 0xff, v57
	s_delay_alu instid0(VALU_DEP_3) | instskip(NEXT) | instid1(VALU_DEP_3)
	v_and_b32_e32 v92, 0xff, v61
	v_sub_nc_u16 v60, v47, v62
	v_mul_lo_u16 v57, v90, 12
	s_delay_alu instid0(VALU_DEP_4) | instskip(NEXT) | instid1(VALU_DEP_4)
	v_lshlrev_b32_e32 v61, 4, v91
	v_lshlrev_b32_e32 v64, 4, v92
	s_delay_alu instid0(VALU_DEP_4) | instskip(NEXT) | instid1(VALU_DEP_4)
	v_and_b32_e32 v94, 0xff, v60
	v_sub_nc_u16 v70, v42, v57
	v_lshrrev_b32_e32 v57, 19, v68
	s_clause 0x1
	global_load_b128 v[60:63], v61, s[8:9] offset:80
	global_load_b128 v[64:67], v64, s[8:9] offset:80
	v_and_b32_e32 v59, 0xffff, v53
	v_mul_lo_u16 v68, v93, 12
	v_and_b32_e32 v95, 0xff, v70
	v_mul_lo_u16 v72, v57, 12
	s_delay_alu instid0(VALU_DEP_4) | instskip(NEXT) | instid1(VALU_DEP_4)
	v_mul_u32_u24_e32 v59, 0xaaab, v59
	v_sub_nc_u16 v51, v51, v68
	s_delay_alu instid0(VALU_DEP_3) | instskip(NEXT) | instid1(VALU_DEP_3)
	v_sub_nc_u16 v50, v50, v72
	v_lshrrev_b32_e32 v59, 19, v59
	s_delay_alu instid0(VALU_DEP_3) | instskip(NEXT) | instid1(VALU_DEP_2)
	v_and_b32_e32 v51, 0xffff, v51
	v_mul_lo_u16 v69, v59, 12
	v_mul_u32_u24_e32 v59, 0x120, v59
	s_delay_alu instid0(VALU_DEP_2)
	v_sub_nc_u16 v53, v53, v69
	v_lshlrev_b32_e32 v69, 4, v94
	global_load_b128 v[68:71], v69, s[8:9] offset:80
	v_and_b32_e32 v96, 0xffff, v53
	v_lshlrev_b32_e32 v53, 4, v95
	global_load_b128 v[72:75], v53, s[8:9] offset:80
	v_and_b32_e32 v53, 0xffff, v50
	v_lshlrev_b32_e32 v76, 4, v96
	v_lshlrev_b32_e32 v50, 4, v51
	v_and_b32_e32 v58, 0xffff, v58
	s_delay_alu instid0(VALU_DEP_4)
	v_lshlrev_b32_e32 v84, 4, v53
	s_wait_loadcnt_dscnt 0x103
	v_mul_f32_e32 v97, v71, v29
	global_load_b128 v[76:79], v76, s[8:9] offset:80
	v_mul_f32_e32 v71, v71, v28
	v_fma_f32 v28, v70, v28, -v97
	v_lshlrev_b32_e32 v51, 3, v51
	s_wait_loadcnt 0x1
	v_mul_f32_e32 v98, v73, v35
	v_mul_f32_e32 v73, v73, v34
	s_clause 0x1
	global_load_b128 v[80:83], v50, s[8:9] offset:80
	global_load_b128 v[84:87], v84, s[8:9] offset:80
	v_dual_mul_f32 v99, v31, v75 :: v_dual_and_b32 v50, 0xffff, v88
	v_and_b32_e32 v88, 0xffff, v89
	v_and_b32_e32 v89, 0xffff, v90
	v_mul_u32_u24_e32 v90, 0x120, v93
	v_lshlrev_b32_e32 v93, 3, v94
	v_mul_f32_e32 v75, v30, v75
	v_mul_u32_u24_e32 v58, 0x120, v58
	v_mul_u32_u24_e32 v89, 0x120, v89
	v_fmac_f32_e32 v71, v70, v29
	v_fma_f32 v29, v30, v74, -v99
	v_mul_u32_u24_e32 v50, 0x120, v50
	v_add3_u32 v90, 0, v90, v51
	v_mul_f32_e32 v51, v61, v16
	v_fmac_f32_e32 v73, v72, v35
	global_wb scope:SCOPE_SE
	s_wait_loadcnt_dscnt 0x0
	s_barrier_signal -1
	s_barrier_wait -1
	global_inv scope:SCOPE_SE
	v_mul_f32_e32 v101, v21, v79
	v_mul_u32_u24_e32 v88, 0x120, v88
	v_mul_f32_e32 v100, v25, v77
	v_mul_f32_e32 v77, v24, v77
	s_delay_alu instid0(VALU_DEP_4) | instskip(NEXT) | instid1(VALU_DEP_4)
	v_fma_f32 v30, v20, v78, -v101
	v_add3_u32 v88, 0, v88, v93
	v_mul_f32_e32 v102, v27, v81
	v_dual_mul_f32 v81, v26, v81 :: v_dual_lshlrev_b32 v94, 3, v95
	v_mul_f32_e32 v104, v41, v85
	v_fmac_f32_e32 v77, v25, v76
	v_mul_f32_e32 v103, v23, v83
	s_delay_alu instid0(VALU_DEP_4) | instskip(SKIP_3) | instid1(VALU_DEP_3)
	v_add3_u32 v89, 0, v89, v94
	v_mul_f32_e32 v94, v65, v19
	v_dual_mul_f32 v65, v65, v18 :: v_dual_lshlrev_b32 v92, 3, v92
	v_fmac_f32_e32 v81, v27, v80
	v_fma_f32 v18, v64, v18, -v94
	v_lshlrev_b32_e32 v95, 3, v96
	s_delay_alu instid0(VALU_DEP_4) | instskip(SKIP_2) | instid1(VALU_DEP_4)
	v_add3_u32 v92, 0, v58, v92
	v_mul_f32_e32 v96, v69, v33
	v_dual_mul_f32 v69, v69, v32 :: v_dual_mul_f32 v58, v36, v87
	v_add3_u32 v93, 0, v59, v95
	v_mul_f32_e32 v95, v67, v15
	v_mul_f32_e32 v67, v67, v14
	s_delay_alu instid0(VALU_DEP_4) | instskip(NEXT) | instid1(VALU_DEP_2)
	v_dual_fmac_f32 v58, v37, v86 :: v_dual_lshlrev_b32 v91, 3, v91
	v_fmac_f32_e32 v67, v66, v15
	v_fma_f32 v15, v72, v34, -v98
	v_mul_f32_e32 v79, v20, v79
	v_fma_f32 v20, v26, v80, -v102
	v_fmac_f32_e32 v65, v64, v19
	v_fmac_f32_e32 v75, v31, v74
	v_fma_f32 v19, v24, v76, -v100
	v_add_f32_e32 v64, v15, v29
	v_add_f32_e32 v74, v9, v77
	v_fma_f32 v31, v22, v82, -v103
	v_fmac_f32_e32 v79, v21, v78
	v_add3_u32 v91, 0, v50, v91
	v_mul_f32_e32 v50, v61, v17
	v_mul_f32_e32 v61, v63, v13
	;; [unrolled: 1-line block ×3, first 2 shown]
	v_dual_fmac_f32 v69, v68, v33 :: v_dual_add_f32 v76, v77, v79
	v_add_f32_e32 v70, v8, v19
	v_mul_f32_e32 v59, v40, v85
	v_dual_mul_f32 v85, v37, v87 :: v_dual_add_f32 v72, v19, v30
	v_fma_f32 v16, v60, v16, -v50
	v_fmac_f32_e32 v51, v60, v17
	v_fma_f32 v17, v62, v12, -v61
	v_fma_f32 v50, v66, v14, -v95
	;; [unrolled: 1-line block ×4, first 2 shown]
	v_dual_add_f32 v80, v20, v31 :: v_dual_fmac_f32 v63, v62, v13
	v_fma_f32 v13, v40, v84, -v104
	s_delay_alu instid0(VALU_DEP_4)
	v_add_f32_e32 v40, v14, v28
	v_add_f32_e32 v26, v18, v50
	;; [unrolled: 1-line block ×3, first 2 shown]
	v_fmac_f32_e32 v59, v41, v84
	v_dual_add_f32 v86, v13, v12 :: v_dual_mul_f32 v83, v22, v83
	v_add_f32_e32 v66, v7, v73
	v_dual_add_f32 v22, v16, v17 :: v_dual_sub_f32 v41, v69, v71
	v_add_f32_e32 v37, v4, v14
	s_delay_alu instid0(VALU_DEP_4)
	v_dual_fmac_f32 v83, v23, v82 :: v_dual_add_f32 v78, v10, v20
	v_fma_f32 v4, -0.5, v40, v4
	v_sub_f32_e32 v61, v14, v28
	v_sub_f32_e32 v14, v13, v12
	v_add_f32_e32 v21, v0, v16
	v_add_f32_e32 v25, v2, v18
	v_sub_f32_e32 v36, v18, v50
	v_add_f32_e32 v62, v6, v15
	v_add_f32_e32 v68, v73, v75
	v_sub_f32_e32 v32, v51, v63
	v_add_f32_e32 v24, v51, v63
	v_fma_f32 v18, -0.5, v22, v0
	v_dual_add_f32 v22, v37, v28 :: v_dual_sub_f32 v33, v16, v17
	v_add_f32_e32 v27, v3, v65
	v_add_f32_e32 v16, v21, v17
	;; [unrolled: 1-line block ×3, first 2 shown]
	v_sub_f32_e32 v34, v65, v67
	v_fma_f32 v2, -0.5, v26, v2
	v_add_f32_e32 v35, v65, v67
	v_fma_f32 v6, -0.5, v64, v6
	v_add_f32_e32 v26, v70, v30
	v_add_f32_e32 v87, v59, v58
	v_fma_f32 v8, -0.5, v72, v8
	v_sub_f32_e32 v65, v73, v75
	v_add_f32_e32 v28, v78, v31
	v_sub_f32_e32 v73, v77, v79
	v_add_f32_e32 v23, v1, v51
	v_dual_sub_f32 v77, v19, v30 :: v_dual_sub_f32 v82, v81, v83
	v_fma_f32 v19, -0.5, v24, v1
	s_delay_alu instid0(VALU_DEP_4)
	v_fmamk_f32 v40, v73, 0x3f5db3d7, v8
	v_fma_f32 v10, -0.5, v80, v10
	v_add_f32_e32 v51, v5, v69
	v_add_f32_e32 v81, v81, v83
	v_fma_f32 v0, -0.5, v86, v38
	v_fma_f32 v1, -0.5, v87, v39
	v_fmac_f32_e32 v8, 0xbf5db3d7, v73
	v_sub_f32_e32 v69, v15, v29
	v_dual_sub_f32 v15, v59, v58 :: v_dual_fmamk_f32 v30, v32, 0x3f5db3d7, v18
	v_fmac_f32_e32 v18, 0xbf5db3d7, v32
	v_dual_fmamk_f32 v32, v34, 0x3f5db3d7, v2 :: v_dual_fmac_f32 v3, -0.5, v35
	v_fma_f32 v5, -0.5, v60, v5
	v_sub_f32_e32 v85, v20, v31
	v_dual_add_f32 v17, v23, v63 :: v_dual_add_f32 v20, v25, v50
	v_dual_fmamk_f32 v50, v15, 0xbf5db3d7, v0 :: v_dual_fmac_f32 v7, -0.5, v68
	v_fma_f32 v9, -0.5, v76, v9
	v_fmamk_f32 v31, v33, 0xbf5db3d7, v19
	v_dual_fmamk_f32 v60, v82, 0x3f5db3d7, v10 :: v_dual_add_f32 v23, v51, v71
	v_dual_fmac_f32 v10, 0xbf5db3d7, v82 :: v_dual_fmac_f32 v11, -0.5, v81
	v_fmamk_f32 v51, v14, 0x3f5db3d7, v1
	v_fmac_f32_e32 v19, 0x3f5db3d7, v33
	v_add_f32_e32 v21, v27, v67
	v_dual_fmamk_f32 v33, v36, 0xbf5db3d7, v3 :: v_dual_fmac_f32 v2, 0xbf5db3d7, v34
	v_dual_fmac_f32 v3, 0x3f5db3d7, v36 :: v_dual_fmamk_f32 v34, v41, 0x3f5db3d7, v4
	v_dual_fmac_f32 v4, 0xbf5db3d7, v41 :: v_dual_fmamk_f32 v35, v61, 0xbf5db3d7, v5
	v_add_f32_e32 v24, v62, v29
	v_add_f32_e32 v25, v66, v75
	;; [unrolled: 1-line block ×4, first 2 shown]
	v_dual_fmac_f32 v5, 0x3f5db3d7, v61 :: v_dual_fmamk_f32 v36, v65, 0x3f5db3d7, v6
	v_dual_fmac_f32 v6, 0xbf5db3d7, v65 :: v_dual_fmamk_f32 v37, v69, 0xbf5db3d7, v7
	v_fmac_f32_e32 v7, 0x3f5db3d7, v69
	v_fmamk_f32 v41, v77, 0xbf5db3d7, v9
	v_fmac_f32_e32 v9, 0x3f5db3d7, v77
	v_fmamk_f32 v61, v85, 0xbf5db3d7, v11
	v_fmac_f32_e32 v11, 0x3f5db3d7, v85
	ds_store_2addr_b64 v91, v[16:17], v[30:31] offset1:12
	ds_store_b64 v91, v[18:19] offset:192
	ds_store_2addr_b64 v92, v[20:21], v[32:33] offset1:12
	ds_store_b64 v92, v[2:3] offset:192
	;; [unrolled: 2-line block ×6, first 2 shown]
	s_and_saveexec_b32 s1, s0
	s_cbranch_execz .LBB0_27
; %bb.26:
	v_mul_lo_u16 v2, v57, 36
	v_dual_mul_f32 v4, 0x3f5db3d7, v15 :: v_dual_add_f32 v5, v38, v13
	v_dual_mul_f32 v6, 0x3f5db3d7, v14 :: v_dual_lshlrev_b32 v7, 3, v53
	s_delay_alu instid0(VALU_DEP_3) | instskip(NEXT) | instid1(VALU_DEP_2)
	v_dual_add_f32 v3, v39, v59 :: v_dual_and_b32 v2, 0xffff, v2
	v_dual_add_f32 v0, v4, v0 :: v_dual_sub_f32 v1, v1, v6
	s_delay_alu instid0(VALU_DEP_2) | instskip(NEXT) | instid1(VALU_DEP_3)
	v_lshlrev_b32_e32 v8, 3, v2
	v_dual_add_f32 v3, v3, v58 :: v_dual_add_f32 v2, v5, v12
	s_delay_alu instid0(VALU_DEP_2)
	v_add3_u32 v4, 0, v7, v8
	ds_store_2addr_b64 v4, v[2:3], v[0:1] offset1:12
	ds_store_b64 v4, v[50:51] offset:192
.LBB0_27:
	s_wait_alu 0xfffe
	s_or_b32 exec_lo, exec_lo, s1
	v_subrev_nc_u32_e32 v0, 36, v46
	v_cmp_gt_u32_e64 s0, 36, v46
	v_mul_lo_u16 v2, v56, 57
	v_mul_lo_u16 v6, v54, 57
	global_wb scope:SCOPE_SE
	s_wait_dscnt 0x0
	s_barrier_signal -1
	s_wait_alu 0xf1ff
	v_cndmask_b32_e64 v4, v0, v46, s0
	v_mov_b32_e32 v1, 0
	v_lshrrev_b16 v5, 11, v2
	v_mul_lo_u16 v2, v55, 57
	s_barrier_wait -1
	v_lshlrev_b32_e32 v0, 2, v4
	global_inv scope:SCOPE_SE
	v_mul_lo_u16 v3, v5, 36
	v_lshrrev_b16 v86, 11, v2
	v_lshlrev_b64_e32 v[0:1], 3, v[0:1]
	s_delay_alu instid0(VALU_DEP_3) | instskip(NEXT) | instid1(VALU_DEP_3)
	v_sub_nc_u16 v2, v43, v3
	v_mul_lo_u16 v3, v86, 36
	v_lshrrev_b16 v43, 11, v6
	s_delay_alu instid0(VALU_DEP_4)
	v_add_co_u32 v0, s0, s8, v0
	s_wait_alu 0xf1ff
	v_add_co_ci_u32_e64 v1, s0, s9, v1, s0
	v_cmp_lt_u32_e64 s0, 35, v46
	global_load_b128 v[10:13], v[0:1], off offset:272
	v_and_b32_e32 v90, 0xff, v2
	global_load_b128 v[14:17], v[0:1], off offset:288
	v_sub_nc_u16 v2, v47, v3
	v_mul_lo_u16 v3, v43, 36
	v_add_nc_u32_e32 v62, 0xc00, v52
	v_lshlrev_b32_e32 v6, 5, v90
	s_wait_alu 0xf1ff
	v_cndmask_b32_e64 v92, 0, 0x5a0, s0
	v_cmp_gt_u32_e64 s0, 54, v46
	s_clause 0x1
	global_load_b128 v[18:21], v6, s[8:9] offset:272
	global_load_b128 v[22:25], v6, s[8:9] offset:288
	v_sub_nc_u16 v0, v42, v3
	v_and_b32_e32 v91, 0xff, v2
	v_add_nc_u32_e32 v58, 0x400, v52
	v_add_nc_u32_e32 v53, 0x1400, v52
	;; [unrolled: 1-line block ×3, first 2 shown]
	v_and_b32_e32 v42, 0xff, v0
	v_lshlrev_b32_e32 v1, 5, v91
	s_delay_alu instid0(VALU_DEP_2)
	v_lshlrev_b32_e32 v0, 5, v42
	s_clause 0x3
	global_load_b128 v[26:29], v1, s[8:9] offset:272
	global_load_b128 v[30:33], v1, s[8:9] offset:288
	;; [unrolled: 1-line block ×4, first 2 shown]
	v_add_nc_u32_e32 v70, 0x1c00, v52
	ds_load_2addr_b64 v[6:9], v52 offset1:63
	ds_load_2addr_b64 v[0:3], v52 offset0:126 offset1:189
	v_add_nc_u32_e32 v56, 0x1000, v52
	v_add_nc_u32_e32 v55, 0x1800, v52
	ds_load_2addr_b64 v[58:61], v58 offset0:124 offset1:187
	ds_load_2addr_b64 v[62:65], v62 offset0:120 offset1:183
	;; [unrolled: 1-line block ×7, first 2 shown]
	v_add_nc_u32_e32 v54, 0x2000, v52
	v_and_b32_e32 v93, 0xffff, v86
	v_lshlrev_b32_e32 v4, 3, v4
	v_and_b32_e32 v5, 0xffff, v5
	v_lshlrev_b32_e32 v90, 3, v90
	s_wait_loadcnt_dscnt 0x603
	v_mul_f32_e32 v94, v17, v70
	s_wait_loadcnt 0x5
	s_delay_alu instid0(VALU_DEP_1)
	v_dual_fmac_f32 v94, v16, v71 :: v_dual_mul_f32 v95, v65, v21
	s_wait_loadcnt 0x4
	v_mul_f32_e32 v97, v68, v23
	ds_load_2addr_b64 v[86:89], v54 offset0:110 offset1:173
	v_mul_f32_e32 v21, v64, v21
	v_add3_u32 v92, 0, v92, v4
	v_dual_mul_f32 v98, v72, v25 :: v_dual_and_b32 v43, 0xffff, v43
	v_mul_f32_e32 v96, v69, v23
	s_delay_alu instid0(VALU_DEP_4) | instskip(SKIP_1) | instid1(VALU_DEP_4)
	v_fmac_f32_e32 v21, v65, v20
	v_fmac_f32_e32 v97, v69, v22
	;; [unrolled: 1-line block ×3, first 2 shown]
	v_mul_u32_u24_e32 v43, 0x5a0, v43
	global_wb scope:SCOPE_SE
	s_wait_loadcnt_dscnt 0x0
	v_mul_f32_e32 v99, v79, v29
	v_mul_f32_e32 v100, v83, v31
	s_barrier_signal -1
	v_mul_f32_e32 v104, v85, v39
	v_mul_u32_u24_e32 v4, 0x5a0, v5
	s_barrier_wait -1
	global_inv scope:SCOPE_SE
	v_mul_f32_e32 v23, v73, v25
	v_add3_u32 v90, 0, v4, v90
	v_mul_f32_e32 v4, v11, v59
	v_mul_f32_e32 v102, v86, v33
	v_mul_u32_u24_e32 v5, 0x5a0, v93
	v_lshlrev_b32_e32 v91, 3, v91
	v_mul_f32_e32 v93, v17, v71
	s_delay_alu instid0(VALU_DEP_4) | instskip(SKIP_1) | instid1(VALU_DEP_4)
	v_dual_mul_f32 v17, v61, v19 :: v_dual_fmac_f32 v102, v87, v32
	v_mul_f32_e32 v19, v60, v19
	v_add3_u32 v91, 0, v5, v91
	v_mul_f32_e32 v5, v11, v58
	v_dual_mul_f32 v11, v13, v63 :: v_dual_lshlrev_b32 v42, 3, v42
	v_mul_f32_e32 v13, v13, v62
	v_fma_f32 v4, v10, v58, -v4
	v_mul_f32_e32 v25, v75, v27
	s_delay_alu instid0(VALU_DEP_4)
	v_add3_u32 v42, 0, v43, v42
	v_mul_f32_e32 v43, v15, v67
	v_mul_f32_e32 v15, v15, v66
	v_fma_f32 v58, v68, v22, -v96
	v_fmac_f32_e32 v13, v12, v63
	v_fma_f32 v22, v78, v28, -v99
	s_delay_alu instid0(VALU_DEP_4)
	v_fmac_f32_e32 v15, v14, v67
	v_fmac_f32_e32 v5, v10, v59
	v_fma_f32 v10, v12, v62, -v11
	v_mul_f32_e32 v31, v82, v31
	v_fma_f32 v12, v14, v66, -v43
	v_mul_f32_e32 v101, v87, v33
	v_mul_f32_e32 v33, v77, v35
	v_fma_f32 v43, v16, v70, -v93
	v_mul_f32_e32 v103, v81, v37
	v_mul_f32_e32 v105, v89, v41
	v_fma_f32 v11, v60, v18, -v17
	v_fmac_f32_e32 v19, v61, v18
	v_fma_f32 v14, v64, v20, -v95
	v_fma_f32 v59, v72, v24, -v23
	v_dual_mul_f32 v41, v88, v41 :: v_dual_add_f32 v18, v6, v4
	v_fma_f32 v16, v74, v26, -v25
	v_sub_f32_e32 v70, v21, v97
	s_delay_alu instid0(VALU_DEP_4)
	v_dual_sub_f32 v72, v59, v58 :: v_dual_mul_f32 v37, v80, v37
	v_sub_f32_e32 v64, v94, v15
	v_dual_sub_f32 v66, v15, v94 :: v_dual_mul_f32 v27, v74, v27
	v_mul_f32_e32 v35, v76, v35
	v_fma_f32 v60, v82, v30, -v100
	v_fma_f32 v17, v76, v34, -v33
	v_fma_f32 v23, v80, v36, -v103
	v_fmac_f32_e32 v37, v81, v36
	v_fmac_f32_e32 v41, v89, v40
	v_add_f32_e32 v20, v10, v12
	v_fma_f32 v61, v86, v32, -v101
	v_sub_f32_e32 v36, v5, v94
	v_sub_f32_e32 v24, v4, v10
	v_dual_add_f32 v32, v7, v5 :: v_dual_fmac_f32 v35, v77, v34
	v_fma_f32 v34, v84, v38, -v104
	v_add_f32_e32 v68, v14, v58
	v_mul_f32_e32 v29, v78, v29
	v_mul_f32_e32 v39, v84, v39
	v_dual_sub_f32 v74, v14, v11 :: v_dual_fmac_f32 v31, v83, v30
	v_sub_f32_e32 v30, v12, v43
	v_fma_f32 v62, v88, v40, -v105
	v_sub_f32_e32 v40, v4, v43
	v_dual_sub_f32 v82, v21, v19 :: v_dual_fmac_f32 v27, v75, v26
	v_add_f32_e32 v76, v9, v19
	v_add_f32_e32 v26, v4, v43
	;; [unrolled: 1-line block ×3, first 2 shown]
	v_sub_f32_e32 v88, v16, v22
	v_dual_add_f32 v67, v8, v11 :: v_dual_sub_f32 v110, v35, v41
	v_dual_fmac_f32 v39, v85, v38 :: v_dual_sub_f32 v96, v60, v61
	v_sub_f32_e32 v38, v13, v15
	v_dual_add_f32 v65, v5, v94 :: v_dual_add_f32 v108, v2, v17
	v_dual_add_f32 v73, v11, v59 :: v_dual_add_f32 v114, v17, v62
	v_sub_f32_e32 v78, v11, v59
	v_dual_fmac_f32 v29, v79, v28 :: v_dual_sub_f32 v80, v98, v97
	v_sub_f32_e32 v28, v10, v4
	v_sub_f32_e32 v4, v5, v13
	v_dual_sub_f32 v5, v13, v5 :: v_dual_sub_f32 v116, v34, v62
	v_dual_add_f32 v77, v21, v97 :: v_dual_add_f32 v124, v18, v10
	v_dual_add_f32 v85, v22, v60 :: v_dual_sub_f32 v86, v27, v102
	v_dual_sub_f32 v71, v11, v14 :: v_dual_add_f32 v118, v37, v39
	v_dual_sub_f32 v11, v19, v21 :: v_dual_add_f32 v64, v4, v64
	v_sub_f32_e32 v89, v61, v60
	v_sub_f32_e32 v95, v22, v16
	;; [unrolled: 1-line block ×4, first 2 shown]
	v_add_f32_e32 v93, v16, v61
	v_fma_f32 v16, -0.5, v20, v6
	v_fma_f32 v18, -0.5, v26, v6
	v_add_f32_e32 v6, v67, v14
	v_dual_sub_f32 v25, v43, v12 :: v_dual_add_f32 v100, v29, v31
	v_dual_sub_f32 v69, v19, v98 :: v_dual_sub_f32 v112, v17, v23
	v_sub_f32_e32 v83, v97, v98
	v_sub_f32_e32 v87, v29, v31
	v_fma_f32 v20, -0.5, v68, v8
	v_add_f32_e32 v68, v11, v80
	v_add_f32_e32 v109, v23, v34
	v_fma_f32 v8, -0.5, v73, v8
	v_add_f32_e32 v117, v3, v35
	v_sub_f32_e32 v121, v35, v37
	v_fma_f32 v4, -0.5, v85, v0
	v_add_f32_e32 v123, v35, v41
	v_dual_sub_f32 v35, v37, v35 :: v_dual_add_f32 v6, v6, v58
	v_add_f32_e32 v80, v115, v116
	v_fma_f32 v0, -0.5, v93, v0
	v_sub_f32_e32 v125, v39, v41
	v_dual_add_f32 v33, v13, v15 :: v_dual_sub_f32 v104, v27, v29
	v_dual_sub_f32 v63, v10, v12 :: v_dual_add_f32 v106, v27, v102
	v_dual_sub_f32 v75, v58, v59 :: v_dual_sub_f32 v120, v23, v34
	v_dual_add_f32 v81, v19, v98 :: v_dual_add_f32 v126, v24, v25
	v_dual_sub_f32 v107, v31, v102 :: v_dual_fmamk_f32 v24, v38, 0xbf737871, v18
	v_add_f32_e32 v127, v28, v30
	v_add_f32_e32 v13, v32, v13
	v_fma_f32 v19, -0.5, v65, v7
	v_fmamk_f32 v26, v69, 0x3f737871, v20
	v_fma_f32 v10, -0.5, v109, v2
	v_dual_add_f32 v65, v5, v66 :: v_dual_add_f32 v66, v71, v72
	v_add_f32_e32 v71, v82, v83
	v_fmamk_f32 v30, v86, 0x3f737871, v4
	v_fmac_f32_e32 v4, 0xbf737871, v86
	v_fmamk_f32 v32, v87, 0xbf737871, v0
	v_fmac_f32_e32 v0, 0x3f737871, v87
	v_dual_sub_f32 v105, v102, v31 :: v_dual_add_f32 v82, v35, v125
	v_add_f32_e32 v99, v1, v27
	v_dual_sub_f32 v79, v14, v58 :: v_dual_sub_f32 v122, v41, v39
	v_add_f32_e32 v14, v84, v22
	v_sub_f32_e32 v119, v17, v62
	v_fma_f32 v17, -0.5, v33, v7
	v_sub_f32_e32 v103, v22, v60
	v_add_f32_e32 v7, v76, v21
	v_add_f32_e32 v76, v108, v23
	v_dual_sub_f32 v27, v29, v27 :: v_dual_fmamk_f32 v22, v36, 0x3f737871, v16
	v_dual_sub_f32 v111, v37, v39 :: v_dual_fmac_f32 v18, 0x3f737871, v38
	s_delay_alu instid0(VALU_DEP_3)
	v_dual_add_f32 v67, v74, v75 :: v_dual_add_f32 v76, v76, v34
	v_fma_f32 v21, -0.5, v77, v9
	v_add_f32_e32 v74, v104, v105
	v_dual_fmamk_f32 v28, v70, 0xbf737871, v8 :: v_dual_add_f32 v37, v117, v37
	v_dual_fmac_f32 v24, 0x3f167918, v36 :: v_dual_add_f32 v33, v99, v29
	v_fma_f32 v5, -0.5, v100, v1
	v_fma_f32 v1, -0.5, v106, v1
	s_delay_alu instid0(VALU_DEP_4)
	v_add_f32_e32 v84, v37, v39
	v_fma_f32 v2, -0.5, v114, v2
	v_fmac_f32_e32 v9, -0.5, v81
	v_fma_f32 v11, -0.5, v118, v3
	v_dual_fmac_f32 v3, -0.5, v123 :: v_dual_fmac_f32 v26, 0x3f167918, v70
	v_fmac_f32_e32 v16, 0xbf737871, v36
	v_dual_add_f32 v58, v14, v60 :: v_dual_fmamk_f32 v23, v40, 0xbf737871, v17
	v_fmamk_f32 v25, v63, 0x3f737871, v19
	v_fmac_f32_e32 v19, 0xbf737871, v63
	v_fmac_f32_e32 v17, 0x3f737871, v40
	v_dual_sub_f32 v113, v62, v34 :: v_dual_fmac_f32 v20, 0xbf737871, v69
	v_dual_add_f32 v75, v27, v107 :: v_dual_fmac_f32 v16, 0xbf167918, v38
	v_add_f32_e32 v35, v124, v12
	v_dual_fmamk_f32 v27, v78, 0xbf737871, v21 :: v_dual_add_f32 v60, v33, v31
	s_delay_alu instid0(VALU_DEP_4)
	v_dual_add_f32 v83, v13, v15 :: v_dual_fmac_f32 v20, 0xbf167918, v70
	v_fmac_f32_e32 v8, 0x3f737871, v70
	v_fmac_f32_e32 v21, 0x3f737871, v78
	v_fmamk_f32 v31, v101, 0xbf737871, v5
	v_fmamk_f32 v33, v103, 0x3f737871, v1
	;; [unrolled: 1-line block ×4, first 2 shown]
	v_dual_fmac_f32 v9, 0xbf737871, v79 :: v_dual_add_f32 v72, v88, v89
	v_dual_add_f32 v73, v95, v96 :: v_dual_fmac_f32 v2, 0x3f737871, v111
	v_fmac_f32_e32 v5, 0x3f737871, v101
	v_fmac_f32_e32 v1, 0xbf737871, v103
	v_fmamk_f32 v12, v110, 0x3f737871, v10
	v_dual_fmac_f32 v10, 0xbf737871, v110 :: v_dual_add_f32 v7, v7, v97
	v_fmac_f32_e32 v30, 0x3f167918, v87
	v_fmamk_f32 v13, v119, 0xbf737871, v11
	v_fmac_f32_e32 v11, 0x3f737871, v119
	v_fmamk_f32 v15, v120, 0x3f737871, v3
	v_fmac_f32_e32 v3, 0xbf737871, v120
	v_fmac_f32_e32 v22, 0x3f167918, v38
	v_dual_add_f32 v38, v58, v61 :: v_dual_fmac_f32 v23, 0xbf167918, v63
	v_dual_fmac_f32 v8, 0xbf167918, v69 :: v_dual_add_f32 v81, v121, v122
	v_fmac_f32_e32 v18, 0xbf167918, v36
	v_dual_fmac_f32 v25, 0xbf167918, v40 :: v_dual_fmac_f32 v4, 0xbf167918, v87
	v_dual_fmac_f32 v19, 0x3f167918, v40 :: v_dual_fmac_f32 v12, 0x3f167918, v111
	v_add_f32_e32 v36, v6, v59
	v_dual_add_f32 v6, v76, v62 :: v_dual_fmac_f32 v17, 0x3f167918, v63
	v_dual_fmac_f32 v32, 0x3f167918, v86 :: v_dual_add_f32 v77, v112, v113
	v_add_f32_e32 v34, v35, v43
	v_dual_add_f32 v35, v83, v94 :: v_dual_fmac_f32 v28, 0x3f167918, v69
	v_dual_fmac_f32 v27, 0xbf167918, v79 :: v_dual_fmac_f32 v0, 0xbf167918, v86
	v_dual_fmac_f32 v21, 0x3f167918, v79 :: v_dual_fmac_f32 v14, 0x3f167918, v110
	v_fmac_f32_e32 v29, 0xbf167918, v78
	v_fmac_f32_e32 v9, 0x3f167918, v78
	v_dual_fmac_f32 v31, 0xbf167918, v103 :: v_dual_fmac_f32 v2, 0xbf167918, v110
	v_fmac_f32_e32 v33, 0xbf167918, v101
	v_dual_add_f32 v37, v7, v98 :: v_dual_fmac_f32 v10, 0xbf167918, v111
	v_fmac_f32_e32 v5, 0x3f167918, v103
	v_fmac_f32_e32 v1, 0x3f167918, v101
	v_dual_add_f32 v7, v84, v41 :: v_dual_fmac_f32 v22, 0x3e9e377a, v126
	v_fmac_f32_e32 v13, 0xbf167918, v120
	v_fmac_f32_e32 v11, 0x3f167918, v120
	;; [unrolled: 1-line block ×4, first 2 shown]
	v_dual_fmac_f32 v16, 0x3e9e377a, v126 :: v_dual_fmac_f32 v23, 0x3e9e377a, v64
	v_dual_add_f32 v39, v60, v102 :: v_dual_fmac_f32 v24, 0x3e9e377a, v127
	v_dual_fmac_f32 v18, 0x3e9e377a, v127 :: v_dual_fmac_f32 v17, 0x3e9e377a, v64
	v_dual_fmac_f32 v25, 0x3e9e377a, v65 :: v_dual_fmac_f32 v26, 0x3e9e377a, v66
	;; [unrolled: 1-line block ×13, first 2 shown]
	v_fmac_f32_e32 v15, 0x3e9e377a, v82
	v_fmac_f32_e32 v3, 0x3e9e377a, v82
	ds_store_2addr_b64 v92, v[34:35], v[22:23] offset1:36
	ds_store_2addr_b64 v92, v[24:25], v[18:19] offset0:72 offset1:108
	ds_store_b64 v92, v[16:17] offset:1152
	ds_store_2addr_b64 v90, v[36:37], v[26:27] offset1:36
	ds_store_2addr_b64 v90, v[28:29], v[8:9] offset0:72 offset1:108
	ds_store_b64 v90, v[20:21] offset:1152
	;; [unrolled: 3-line block ×4, first 2 shown]
	global_wb scope:SCOPE_SE
	s_wait_dscnt 0x0
	s_barrier_signal -1
	s_barrier_wait -1
	global_inv scope:SCOPE_SE
	ds_load_2addr_b64 v[16:19], v52 offset1:63
	ds_load_2addr_b64 v[20:23], v52 offset0:180 offset1:243
	ds_load_2addr_b64 v[24:27], v57 offset0:104 offset1:167
	ds_load_2addr_b64 v[28:31], v56 offset0:28 offset1:91
	ds_load_2addr_b64 v[32:35], v53 offset0:80 offset1:143
	ds_load_2addr_b64 v[36:39], v55 offset0:132 offset1:195
	ds_load_2addr_b64 v[40:43], v54 offset0:56 offset1:119
	s_and_saveexec_b32 s1, s0
	s_cbranch_execz .LBB0_29
; %bb.28:
	v_add_nc_u32_e32 v0, 0x1a00, v52
	ds_load_2addr_b64 v[8:11], v0 offset0:14 offset1:194
	v_add_nc_u32_e32 v1, 0x200, v52
	v_add_nc_u32_e32 v0, 0xe00, v52
	s_wait_dscnt 0x0
	v_mov_b32_e32 v2, v8
	ds_load_b64 v[50:51], v52 offset:9648
	ds_load_2addr_b64 v[4:7], v1 offset0:62 offset1:242
	ds_load_2addr_b64 v[12:15], v0 offset0:38 offset1:218
	v_mov_b32_e32 v3, v9
.LBB0_29:
	s_wait_alu 0xfffe
	s_or_b32 exec_lo, exec_lo, s1
	v_mul_u32_u24_e32 v0, 6, v46
	s_delay_alu instid0(VALU_DEP_1)
	v_lshlrev_b32_e32 v0, 3, v0
	s_clause 0x5
	global_load_b128 v[58:61], v0, s[8:9] offset:1424
	global_load_b128 v[62:65], v0, s[8:9] offset:1440
	;; [unrolled: 1-line block ×6, first 2 shown]
	global_wb scope:SCOPE_SE
	s_wait_loadcnt_dscnt 0x0
	s_barrier_signal -1
	s_barrier_wait -1
	global_inv scope:SCOPE_SE
	v_dual_mul_f32 v0, v59, v21 :: v_dual_mul_f32 v9, v61, v24
	v_mul_f32_e32 v83, v69, v41
	v_dual_mul_f32 v1, v59, v20 :: v_dual_mul_f32 v8, v61, v25
	v_mul_f32_e32 v59, v63, v29
	v_mul_f32_e32 v86, v31, v75
	v_mul_f32_e32 v82, v67, v37
	v_fma_f32 v0, v58, v20, -v0
	v_fmac_f32_e32 v9, v60, v25
	v_fma_f32 v25, v68, v40, -v83
	v_mul_f32_e32 v61, v63, v28
	v_dual_mul_f32 v63, v65, v33 :: v_dual_mul_f32 v84, v71, v23
	v_mul_f32_e32 v65, v65, v32
	v_mul_f32_e32 v71, v71, v22
	v_fmac_f32_e32 v1, v58, v21
	v_fma_f32 v8, v60, v24, -v8
	v_fma_f32 v20, v62, v28, -v59
	;; [unrolled: 1-line block ×4, first 2 shown]
	v_mul_f32_e32 v85, v73, v27
	v_mul_f32_e32 v67, v67, v36
	v_dual_mul_f32 v69, v69, v40 :: v_dual_mul_f32 v88, v39, v79
	v_mul_f32_e32 v73, v73, v26
	v_mul_f32_e32 v75, v30, v75
	v_fmac_f32_e32 v71, v70, v23
	v_fma_f32 v23, v72, v26, -v85
	v_fma_f32 v26, v30, v74, -v86
	v_dual_mul_f32 v79, v38, v79 :: v_dual_add_f32 v30, v0, v25
	v_sub_f32_e32 v0, v0, v25
	v_add_f32_e32 v25, v8, v24
	v_sub_f32_e32 v8, v8, v24
	v_add_f32_e32 v24, v20, v21
	v_dual_sub_f32 v20, v21, v20 :: v_dual_fmac_f32 v67, v66, v37
	v_fma_f32 v22, v70, v22, -v84
	v_fmac_f32_e32 v73, v72, v27
	v_fma_f32 v28, v38, v78, -v88
	s_delay_alu instid0(VALU_DEP_4) | instskip(SKIP_2) | instid1(VALU_DEP_4)
	v_dual_fmac_f32 v79, v39, v78 :: v_dual_add_f32 v58, v20, v8
	v_sub_f32_e32 v60, v20, v8
	v_dual_sub_f32 v20, v0, v20 :: v_dual_mul_f32 v87, v35, v77
	v_dual_mul_f32 v77, v34, v77 :: v_dual_add_f32 v36, v23, v28
	s_delay_alu instid0(VALU_DEP_4) | instskip(NEXT) | instid1(VALU_DEP_3)
	v_dual_sub_f32 v23, v23, v28 :: v_dual_sub_f32 v28, v73, v79
	v_fma_f32 v27, v34, v76, -v87
	v_mul_f32_e32 v89, v43, v81
	v_dual_fmac_f32 v61, v62, v29 :: v_dual_sub_f32 v8, v8, v0
	v_mul_f32_e32 v60, 0xbf08b237, v60
	s_delay_alu instid0(VALU_DEP_4) | instskip(NEXT) | instid1(VALU_DEP_4)
	v_add_f32_e32 v38, v26, v27
	v_fma_f32 v29, v42, v80, -v89
	v_dual_sub_f32 v26, v27, v26 :: v_dual_fmac_f32 v69, v68, v41
	v_dual_fmac_f32 v75, v31, v74 :: v_dual_mul_f32 v70, 0x3f5ff5aa, v8
	s_delay_alu instid0(VALU_DEP_3) | instskip(SKIP_1) | instid1(VALU_DEP_4)
	v_add_f32_e32 v34, v22, v29
	v_sub_f32_e32 v22, v22, v29
	v_dual_fmac_f32 v65, v64, v33 :: v_dual_sub_f32 v68, v26, v23
	v_dual_mul_f32 v81, v42, v81 :: v_dual_add_f32 v40, v25, v30
	s_delay_alu instid0(VALU_DEP_4) | instskip(NEXT) | instid1(VALU_DEP_2)
	v_dual_fmac_f32 v77, v35, v76 :: v_dual_add_f32 v62, v36, v34
	v_dual_sub_f32 v42, v25, v30 :: v_dual_fmac_f32 v81, v43, v80
	v_sub_f32_e32 v64, v36, v34
	v_sub_f32_e32 v30, v30, v24
	v_dual_add_f32 v32, v9, v67 :: v_dual_sub_f32 v25, v24, v25
	v_dual_sub_f32 v34, v34, v38 :: v_dual_add_f32 v33, v61, v65
	v_add_f32_e32 v24, v24, v40
	v_dual_sub_f32 v36, v38, v36 :: v_dual_add_f32 v31, v1, v69
	v_dual_sub_f32 v9, v9, v67 :: v_dual_add_f32 v40, v58, v0
	v_mul_f32_e32 v58, 0x3d64c772, v25
	v_dual_sub_f32 v1, v1, v69 :: v_dual_add_f32 v66, v26, v23
	s_delay_alu instid0(VALU_DEP_4)
	v_add_f32_e32 v41, v32, v31
	v_dual_sub_f32 v43, v32, v31 :: v_dual_mul_f32 v34, 0x3f4a47b2, v34
	v_dual_sub_f32 v31, v31, v33 :: v_dual_sub_f32 v32, v33, v32
	v_sub_f32_e32 v21, v65, v61
	v_dual_add_f32 v35, v71, v81 :: v_dual_mul_f32 v30, 0x3f4a47b2, v30
	v_sub_f32_e32 v29, v71, v81
	v_dual_sub_f32 v27, v77, v75 :: v_dual_add_f32 v38, v38, v62
	s_delay_alu instid0(VALU_DEP_4)
	v_dual_sub_f32 v26, v22, v26 :: v_dual_sub_f32 v61, v21, v9
	v_dual_add_f32 v0, v24, v16 :: v_dual_sub_f32 v23, v23, v22
	v_add_f32_e32 v59, v21, v9
	v_dual_sub_f32 v9, v9, v1 :: v_dual_add_f32 v22, v66, v22
	v_dual_add_f32 v33, v33, v41 :: v_dual_mul_f32 v62, 0x3d64c772, v36
	v_mul_f32_e32 v31, 0x3f4a47b2, v31
	v_add_f32_e32 v39, v75, v77
	v_dual_sub_f32 v21, v1, v21 :: v_dual_mul_f32 v66, 0xbf08b237, v68
	v_dual_add_f32 v67, v27, v28 :: v_dual_fmamk_f32 v16, v25, 0x3d64c772, v30
	v_dual_mul_f32 v68, 0x3f5ff5aa, v23 :: v_dual_add_f32 v41, v59, v1
	v_mul_f32_e32 v59, 0x3d64c772, v32
	v_add_f32_e32 v1, v33, v17
	v_fmamk_f32 v17, v32, 0x3d64c772, v31
	v_fma_f32 v25, 0x3f3bfb3b, v42, -v58
	v_fma_f32 v31, 0xbf3bfb3b, v43, -v31
	v_mul_f32_e32 v61, 0xbf08b237, v61
	v_fma_f32 v58, 0x3f5ff5aa, v8, -v60
	v_dual_add_f32 v8, v38, v18 :: v_dual_mul_f32 v71, 0x3f5ff5aa, v9
	v_add_f32_e32 v37, v73, v79
	v_fma_f32 v32, 0x3f3bfb3b, v43, -v59
	v_fma_f32 v30, 0xbf3bfb3b, v42, -v30
	v_dual_fmamk_f32 v42, v20, 0x3eae86e6, v60 :: v_dual_fmamk_f32 v43, v21, 0x3eae86e6, v61
	v_fma_f32 v60, 0xbeae86e6, v20, -v70
	v_fma_f32 v20, 0xbeae86e6, v21, -v71
	;; [unrolled: 1-line block ×4, first 2 shown]
	v_dual_sub_f32 v69, v27, v28 :: v_dual_sub_f32 v28, v28, v29
	v_dual_add_f32 v63, v37, v35 :: v_dual_fmamk_f32 v18, v36, 0x3d64c772, v34
	v_dual_sub_f32 v65, v37, v35 :: v_dual_fmac_f32 v42, 0x3ee1c552, v40
	v_fma_f32 v34, 0xbf3bfb3b, v64, -v34
	v_fma_f32 v64, 0xbeae86e6, v26, -v68
	v_dual_fmac_f32 v62, 0x3ee1c552, v22 :: v_dual_sub_f32 v35, v35, v39
	v_dual_sub_f32 v37, v39, v37 :: v_dual_fmac_f32 v58, 0x3ee1c552, v40
	v_add_f32_e32 v39, v39, v63
	v_dual_fmamk_f32 v23, v24, 0xbf955555, v0 :: v_dual_fmamk_f32 v24, v33, 0xbf955555, v1
	v_dual_fmac_f32 v64, 0x3ee1c552, v22 :: v_dual_fmac_f32 v43, 0x3ee1c552, v41
	v_mul_f32_e32 v35, 0x3f4a47b2, v35
	v_fma_f32 v59, 0x3f5ff5aa, v9, -v61
	v_dual_add_f32 v9, v39, v19 :: v_dual_fmac_f32 v20, 0x3ee1c552, v41
	v_mul_f32_e32 v63, 0x3d64c772, v37
	s_delay_alu instid0(VALU_DEP_4) | instskip(SKIP_4) | instid1(VALU_DEP_4)
	v_fmamk_f32 v19, v37, 0x3d64c772, v35
	v_fmamk_f32 v37, v26, 0x3eae86e6, v66
	v_dual_sub_f32 v27, v29, v27 :: v_dual_fmac_f32 v60, 0x3ee1c552, v40
	v_fmac_f32_e32 v59, 0x3ee1c552, v41
	v_dual_fmamk_f32 v26, v38, 0xbf955555, v8 :: v_dual_add_f32 v29, v67, v29
	v_dual_fmac_f32 v37, 0x3ee1c552, v22 :: v_dual_add_f32 v22, v16, v23
	v_add_f32_e32 v25, v25, v23
	v_mul_f32_e32 v67, 0xbf08b237, v69
	v_mul_f32_e32 v69, 0x3f5ff5aa, v28
	v_add_f32_e32 v23, v30, v23
	ds_store_2addr_b64 v52, v[0:1], v[8:9] offset1:63
	v_add_f32_e32 v38, v18, v26
	v_add_f32_e32 v18, v59, v25
	;; [unrolled: 1-line block ×3, first 2 shown]
	v_fma_f32 v35, 0xbf3bfb3b, v65, -v35
	v_add_f32_e32 v8, v20, v23
	v_fma_f32 v36, 0x3f3bfb3b, v65, -v63
	v_fma_f32 v65, 0xbeae86e6, v27, -v69
	v_sub_f32_e32 v16, v25, v59
	v_fma_f32 v63, 0x3f5ff5aa, v28, -v67
	v_add_f32_e32 v30, v21, v26
	s_delay_alu instid0(VALU_DEP_4) | instskip(SKIP_3) | instid1(VALU_DEP_3)
	v_dual_sub_f32 v22, v22, v43 :: v_dual_fmac_f32 v65, 0x3ee1c552, v29
	v_fmamk_f32 v61, v27, 0x3eae86e6, v67
	v_fmamk_f32 v27, v39, 0xbf955555, v9
	v_dual_fmac_f32 v63, 0x3ee1c552, v29 :: v_dual_add_f32 v28, v17, v24
	v_dual_sub_f32 v20, v23, v20 :: v_dual_fmac_f32 v61, 0x3ee1c552, v29
	v_add_f32_e32 v29, v32, v24
	s_delay_alu instid0(VALU_DEP_3)
	v_dual_add_f32 v24, v31, v24 :: v_dual_sub_f32 v1, v28, v42
	v_add_f32_e32 v23, v42, v28
	v_sub_f32_e32 v28, v30, v63
	v_add_f32_e32 v30, v63, v30
	v_dual_add_f32 v39, v19, v27 :: v_dual_add_f32 v32, v34, v26
	v_add_f32_e32 v33, v35, v27
	v_add_f32_e32 v31, v36, v27
	v_sub_f32_e32 v9, v24, v60
	v_dual_add_f32 v21, v60, v24 :: v_dual_add_f32 v24, v61, v38
	v_dual_sub_f32 v25, v39, v37 :: v_dual_add_f32 v26, v65, v32
	v_dual_sub_f32 v32, v32, v65 :: v_dual_sub_f32 v27, v33, v64
	v_add_f32_e32 v17, v58, v29
	v_sub_f32_e32 v19, v29, v58
	v_add_f32_e32 v29, v62, v31
	v_sub_f32_e32 v31, v31, v62
	v_add_f32_e32 v33, v64, v33
	v_dual_sub_f32 v34, v38, v61 :: v_dual_add_f32 v35, v37, v39
	ds_store_2addr_b64 v52, v[0:1], v[24:25] offset0:180 offset1:243
	ds_store_2addr_b64 v57, v[8:9], v[26:27] offset0:104 offset1:167
	;; [unrolled: 1-line block ×6, first 2 shown]
	s_and_saveexec_b32 s1, s0
	s_cbranch_execz .LBB0_31
; %bb.30:
	v_subrev_nc_u32_e32 v0, 54, v46
	v_dual_mov_b32 v1, 0 :: v_dual_add_nc_u32 v28, 0x200, v52
	s_delay_alu instid0(VALU_DEP_2) | instskip(NEXT) | instid1(VALU_DEP_1)
	v_cndmask_b32_e64 v0, v0, v47, s0
	v_mul_i32_i24_e32 v0, 6, v0
	s_delay_alu instid0(VALU_DEP_1) | instskip(NEXT) | instid1(VALU_DEP_1)
	v_lshlrev_b64_e32 v[0:1], 3, v[0:1]
	v_add_co_u32 v0, s0, s8, v0
	s_wait_alu 0xf1ff
	s_delay_alu instid0(VALU_DEP_2)
	v_add_co_ci_u32_e64 v1, s0, s9, v1, s0
	s_clause 0x2
	global_load_b128 v[16:19], v[0:1], off offset:1424
	global_load_b128 v[20:23], v[0:1], off offset:1456
	;; [unrolled: 1-line block ×3, first 2 shown]
	v_add_nc_u32_e32 v29, 0xe00, v52
	v_add_nc_u32_e32 v30, 0x1a00, v52
	s_wait_loadcnt 0x2
	v_mul_f32_e32 v0, v7, v17
	s_wait_loadcnt 0x1
	v_mul_f32_e32 v1, v51, v23
	s_wait_loadcnt 0x0
	v_dual_mul_f32 v8, v3, v27 :: v_dual_mul_f32 v17, v6, v17
	v_dual_mul_f32 v31, v13, v19 :: v_dual_mul_f32 v32, v11, v21
	v_fma_f32 v0, v6, v16, -v0
	v_fma_f32 v1, v50, v22, -v1
	v_mul_f32_e32 v27, v2, v27
	v_fmac_f32_e32 v17, v7, v16
	v_fma_f32 v2, v2, v26, -v8
	v_fma_f32 v8, v12, v18, -v31
	s_delay_alu instid0(VALU_DEP_4) | instskip(SKIP_3) | instid1(VALU_DEP_2)
	v_fmac_f32_e32 v27, v3, v26
	v_mul_f32_e32 v9, v15, v25
	v_mul_f32_e32 v25, v14, v25
	v_sub_f32_e32 v3, v0, v1
	v_dual_add_f32 v0, v0, v1 :: v_dual_fmac_f32 v25, v15, v24
	v_mul_f32_e32 v19, v12, v19
	s_delay_alu instid0(VALU_DEP_2) | instskip(SKIP_3) | instid1(VALU_DEP_3)
	v_add_f32_e32 v12, v25, v27
	v_fma_f32 v6, v14, v24, -v9
	v_fma_f32 v9, v10, v20, -v32
	v_mul_f32_e32 v23, v50, v23
	v_sub_f32_e32 v7, v2, v6
	v_mul_f32_e32 v21, v10, v21
	s_delay_alu instid0(VALU_DEP_3) | instskip(SKIP_1) | instid1(VALU_DEP_4)
	v_dual_sub_f32 v10, v8, v9 :: v_dual_fmac_f32 v23, v51, v22
	v_dual_add_f32 v1, v6, v2 :: v_dual_add_f32 v2, v8, v9
	v_sub_f32_e32 v14, v3, v7
	s_delay_alu instid0(VALU_DEP_4) | instskip(NEXT) | instid1(VALU_DEP_4)
	v_fmac_f32_e32 v21, v11, v20
	v_add_f32_e32 v11, v17, v23
	v_sub_f32_e32 v15, v7, v10
	v_sub_f32_e32 v20, v1, v2
	v_dual_sub_f32 v8, v27, v25 :: v_dual_fmac_f32 v19, v13, v18
	s_delay_alu instid0(VALU_DEP_4) | instskip(SKIP_1) | instid1(VALU_DEP_3)
	v_sub_f32_e32 v16, v11, v12
	v_add_f32_e32 v7, v7, v10
	v_add_f32_e32 v13, v19, v21
	v_sub_f32_e32 v9, v19, v21
	v_add_f32_e32 v21, v2, v0
	v_sub_f32_e32 v2, v2, v0
	v_sub_f32_e32 v10, v10, v3
	v_add_f32_e32 v18, v13, v11
	v_dual_sub_f32 v6, v17, v23 :: v_dual_sub_f32 v23, v8, v9
	v_sub_f32_e32 v17, v12, v13
	s_delay_alu instid0(VALU_DEP_3) | instskip(NEXT) | instid1(VALU_DEP_3)
	v_dual_add_f32 v3, v7, v3 :: v_dual_add_f32 v12, v12, v18
	v_sub_f32_e32 v22, v6, v8
	v_dual_add_f32 v8, v8, v9 :: v_dual_sub_f32 v9, v9, v6
	v_dual_mul_f32 v18, 0x3d64c772, v20 :: v_dual_sub_f32 v19, v0, v1
	s_delay_alu instid0(VALU_DEP_2)
	v_dual_mul_f32 v7, 0x3f4a47b2, v16 :: v_dual_add_f32 v6, v8, v6
	v_sub_f32_e32 v11, v13, v11
	v_mul_f32_e32 v13, 0xbf08b237, v15
	v_mul_f32_e32 v8, 0x3f5ff5aa, v10
	;; [unrolled: 1-line block ×4, first 2 shown]
	v_fmamk_f32 v17, v17, 0x3d64c772, v7
	v_fmamk_f32 v24, v14, 0x3eae86e6, v13
	v_fma_f32 v14, 0xbeae86e6, v14, -v8
	s_delay_alu instid0(VALU_DEP_2) | instskip(SKIP_1) | instid1(VALU_DEP_3)
	v_dual_fmac_f32 v24, 0x3ee1c552, v3 :: v_dual_add_f32 v19, v1, v21
	v_mul_f32_e32 v21, 0xbf08b237, v23
	v_dual_fmac_f32 v14, 0x3ee1c552, v3 :: v_dual_add_f32 v1, v5, v12
	v_fmamk_f32 v5, v20, 0x3d64c772, v16
	s_delay_alu instid0(VALU_DEP_4)
	v_add_f32_e32 v0, v4, v19
	v_fma_f32 v4, 0xbf3bfb3b, v11, -v7
	v_fma_f32 v7, 0xbf3bfb3b, v2, -v16
	;; [unrolled: 1-line block ×3, first 2 shown]
	v_mul_f32_e32 v23, 0x3f5ff5aa, v9
	v_fmamk_f32 v20, v22, 0x3eae86e6, v21
	s_delay_alu instid0(VALU_DEP_2) | instskip(NEXT) | instid1(VALU_DEP_2)
	v_fma_f32 v16, 0xbeae86e6, v22, -v23
	v_fmac_f32_e32 v20, 0x3ee1c552, v6
	s_delay_alu instid0(VALU_DEP_2) | instskip(SKIP_3) | instid1(VALU_DEP_1)
	v_fmac_f32_e32 v16, 0x3ee1c552, v6
	v_fma_f32 v8, 0x3f3bfb3b, v11, -v15
	v_fma_f32 v15, 0x3f5ff5aa, v9, -v21
	v_fmamk_f32 v9, v12, 0xbf955555, v1
	v_dual_fmac_f32 v15, 0x3ee1c552, v6 :: v_dual_add_f32 v6, v17, v9
	v_fma_f32 v10, 0x3f5ff5aa, v10, -v13
	v_add_f32_e32 v12, v4, v9
	s_delay_alu instid0(VALU_DEP_3) | instskip(NEXT) | instid1(VALU_DEP_3)
	v_dual_add_f32 v8, v8, v9 :: v_dual_sub_f32 v13, v6, v24
	v_fmac_f32_e32 v10, 0x3ee1c552, v3
	v_fmamk_f32 v11, v19, 0xbf955555, v0
	v_add_f32_e32 v3, v24, v6
	s_delay_alu instid0(VALU_DEP_2) | instskip(SKIP_1) | instid1(VALU_DEP_2)
	v_dual_add_f32 v9, v10, v8 :: v_dual_add_f32 v18, v7, v11
	v_sub_f32_e32 v7, v8, v10
	v_add_f32_e32 v10, v16, v18
	v_add_f32_e32 v2, v2, v11
	v_sub_f32_e32 v4, v18, v16
	s_delay_alu instid0(VALU_DEP_2) | instskip(SKIP_2) | instid1(VALU_DEP_3)
	v_dual_add_f32 v6, v15, v2 :: v_dual_add_f32 v17, v5, v11
	v_add_f32_e32 v5, v14, v12
	v_dual_sub_f32 v11, v12, v14 :: v_dual_sub_f32 v8, v2, v15
	v_add_f32_e32 v12, v20, v17
	v_sub_f32_e32 v2, v17, v20
	ds_store_2addr_b64 v28, v[0:1], v[12:13] offset0:62 offset1:242
	ds_store_2addr_b64 v29, v[10:11], v[8:9] offset0:38 offset1:218
	;; [unrolled: 1-line block ×3, first 2 shown]
	ds_store_b64 v52, v[2:3] offset:9648
.LBB0_31:
	s_wait_alu 0xfffe
	s_or_b32 exec_lo, exec_lo, s1
	global_wb scope:SCOPE_SE
	s_wait_dscnt 0x0
	s_barrier_signal -1
	s_barrier_wait -1
	global_inv scope:SCOPE_SE
	s_and_saveexec_b32 s0, vcc_lo
	s_cbranch_execz .LBB0_33
; %bb.32:
	v_mul_lo_u32 v0, s3, v48
	v_mul_lo_u32 v1, s2, v49
	v_mad_co_u64_u32 v[4:5], null, s2, v48, 0
	v_dual_mov_b32 v47, 0 :: v_dual_add_nc_u32 v10, 63, v46
	v_lshl_add_u32 v28, v46, 3, 0
	v_lshlrev_b64_e32 v[8:9], 3, v[44:45]
	s_delay_alu instid0(VALU_DEP_3)
	v_dual_mov_b32 v11, v47 :: v_dual_add_nc_u32 v12, 0x7e, v46
	v_add3_u32 v5, v5, v1, v0
	ds_load_2addr_b64 v[0:3], v28 offset1:63
	v_lshlrev_b64_e32 v[16:17], 3, v[46:47]
	v_mov_b32_e32 v13, v47
	v_lshlrev_b64_e32 v[10:11], 3, v[10:11]
	v_lshlrev_b64_e32 v[14:15], 3, v[4:5]
	ds_load_2addr_b64 v[4:7], v28 offset0:126 offset1:189
	v_dual_mov_b32 v27, v47 :: v_dual_add_nc_u32 v20, 0x1400, v28
	v_add_nc_u32_e32 v26, 0x46e, v46
	v_add_nc_u32_e32 v18, 0x400, v28
	v_add_co_u32 v14, vcc_lo, s6, v14
	s_wait_alu 0xfffd
	v_add_co_ci_u32_e32 v15, vcc_lo, s7, v15, vcc_lo
	v_lshlrev_b64_e32 v[26:27], 3, v[26:27]
	s_delay_alu instid0(VALU_DEP_3) | instskip(SKIP_1) | instid1(VALU_DEP_3)
	v_add_co_u32 v32, vcc_lo, v14, v8
	s_wait_alu 0xfffd
	v_add_co_ci_u32_e32 v33, vcc_lo, v15, v9, vcc_lo
	v_dual_mov_b32 v15, v47 :: v_dual_add_nc_u32 v14, 0xbd, v46
	v_lshlrev_b64_e32 v[8:9], 3, v[12:13]
	v_add_co_u32 v12, vcc_lo, v32, v16
	v_add_nc_u32_e32 v16, 0xfc, v46
	s_wait_alu 0xfffd
	v_add_co_ci_u32_e32 v13, vcc_lo, v33, v17, vcc_lo
	v_add_co_u32 v10, vcc_lo, v32, v10
	v_lshlrev_b64_e32 v[14:15], 3, v[14:15]
	s_wait_alu 0xfffd
	v_add_co_ci_u32_e32 v11, vcc_lo, v33, v11, vcc_lo
	v_add_co_u32 v8, vcc_lo, v32, v8
	s_wait_alu 0xfffd
	v_add_co_ci_u32_e32 v9, vcc_lo, v33, v9, vcc_lo
	v_mov_b32_e32 v17, v47
	v_add_co_u32 v14, vcc_lo, v32, v14
	s_wait_alu 0xfffd
	v_add_co_ci_u32_e32 v15, vcc_lo, v33, v15, vcc_lo
	s_wait_dscnt 0x1
	s_clause 0x1
	global_store_b64 v[12:13], v[0:1], off
	global_store_b64 v[10:11], v[2:3], off
	s_wait_dscnt 0x0
	s_clause 0x1
	global_store_b64 v[8:9], v[4:5], off
	global_store_b64 v[14:15], v[6:7], off
	v_lshlrev_b64_e32 v[4:5], 3, v[16:17]
	v_dual_mov_b32 v7, v47 :: v_dual_add_nc_u32 v6, 0x13b, v46
	v_dual_mov_b32 v15, v47 :: v_dual_add_nc_u32 v14, 0x800, v28
	ds_load_2addr_b64 v[0:3], v18 offset0:124 offset1:187
	v_add_co_u32 v10, vcc_lo, v32, v4
	v_dual_mov_b32 v9, v47 :: v_dual_add_nc_u32 v8, 0x17a, v46
	s_wait_alu 0xfffd
	v_add_co_ci_u32_e32 v11, vcc_lo, v33, v5, vcc_lo
	v_lshlrev_b64_e32 v[12:13], 3, v[6:7]
	ds_load_2addr_b64 v[4:7], v14 offset0:122 offset1:185
	v_add_nc_u32_e32 v14, 0x1b9, v46
	v_lshlrev_b64_e32 v[8:9], 3, v[8:9]
	v_add_nc_u32_e32 v16, 0x1f8, v46
	v_add_nc_u32_e32 v18, 0xc00, v28
	v_add_co_u32 v12, vcc_lo, v32, v12
	v_lshlrev_b64_e32 v[14:15], 3, v[14:15]
	s_wait_alu 0xfffd
	v_add_co_ci_u32_e32 v13, vcc_lo, v33, v13, vcc_lo
	v_add_co_u32 v8, vcc_lo, v32, v8
	s_wait_alu 0xfffd
	v_add_co_ci_u32_e32 v9, vcc_lo, v33, v9, vcc_lo
	v_add_co_u32 v14, vcc_lo, v32, v14
	s_wait_alu 0xfffd
	v_add_co_ci_u32_e32 v15, vcc_lo, v33, v15, vcc_lo
	s_wait_dscnt 0x1
	s_clause 0x1
	global_store_b64 v[10:11], v[0:1], off
	global_store_b64 v[12:13], v[2:3], off
	s_wait_dscnt 0x0
	s_clause 0x1
	global_store_b64 v[8:9], v[4:5], off
	global_store_b64 v[14:15], v[6:7], off
	v_mov_b32_e32 v15, v47
	v_mov_b32_e32 v9, v47
	v_lshlrev_b64_e32 v[4:5], 3, v[16:17]
	v_dual_mov_b32 v19, v47 :: v_dual_add_nc_u32 v6, 0x237, v46
	v_dual_mov_b32 v7, v47 :: v_dual_add_nc_u32 v14, 0x1000, v28
	ds_load_2addr_b64 v[0:3], v18 offset0:120 offset1:183
	v_add_co_u32 v10, vcc_lo, v32, v4
	v_add_nc_u32_e32 v8, 0x276, v46
	s_wait_alu 0xfffd
	v_add_co_ci_u32_e32 v11, vcc_lo, v33, v5, vcc_lo
	v_lshlrev_b64_e32 v[12:13], 3, v[6:7]
	ds_load_2addr_b64 v[4:7], v14 offset0:118 offset1:181
	v_add_nc_u32_e32 v14, 0x2b5, v46
	v_lshlrev_b64_e32 v[8:9], 3, v[8:9]
	v_add_nc_u32_e32 v16, 0x2f4, v46
	v_add_nc_u32_e32 v18, 0x333, v46
	v_add_co_u32 v12, vcc_lo, v32, v12
	v_lshlrev_b64_e32 v[14:15], 3, v[14:15]
	s_wait_alu 0xfffd
	v_add_co_ci_u32_e32 v13, vcc_lo, v33, v13, vcc_lo
	v_add_co_u32 v8, vcc_lo, v32, v8
	s_wait_alu 0xfffd
	v_add_co_ci_u32_e32 v9, vcc_lo, v33, v9, vcc_lo
	v_add_co_u32 v14, vcc_lo, v32, v14
	s_wait_alu 0xfffd
	v_add_co_ci_u32_e32 v15, vcc_lo, v33, v15, vcc_lo
	s_wait_dscnt 0x1
	s_clause 0x1
	global_store_b64 v[10:11], v[0:1], off
	global_store_b64 v[12:13], v[2:3], off
	s_wait_dscnt 0x0
	s_clause 0x1
	global_store_b64 v[8:9], v[4:5], off
	global_store_b64 v[14:15], v[6:7], off
	v_mov_b32_e32 v15, v47
	v_lshlrev_b64_e32 v[4:5], 3, v[16:17]
	v_dual_mov_b32 v9, v47 :: v_dual_add_nc_u32 v8, 0x372, v46
	v_lshlrev_b64_e32 v[6:7], 3, v[18:19]
	v_dual_mov_b32 v11, v47 :: v_dual_add_nc_u32 v10, 0x3b1, v46
	s_delay_alu instid0(VALU_DEP_4) | instskip(NEXT) | instid1(VALU_DEP_4)
	v_add_co_u32 v16, vcc_lo, v32, v4
	v_lshlrev_b64_e32 v[8:9], 3, v[8:9]
	s_wait_alu 0xfffd
	v_add_co_ci_u32_e32 v17, vcc_lo, v33, v5, vcc_lo
	v_add_co_u32 v18, vcc_lo, v32, v6
	s_wait_alu 0xfffd
	v_add_co_ci_u32_e32 v19, vcc_lo, v33, v7, vcc_lo
	ds_load_2addr_b64 v[0:3], v20 offset0:116 offset1:179
	v_add_co_u32 v20, vcc_lo, v32, v8
	v_dual_mov_b32 v13, v47 :: v_dual_add_nc_u32 v12, 0x3f0, v46
	s_wait_alu 0xfffd
	v_add_co_ci_u32_e32 v21, vcc_lo, v33, v9, vcc_lo
	v_lshlrev_b64_e32 v[8:9], 3, v[10:11]
	v_add_nc_u32_e32 v14, 0x42f, v46
	v_add_nc_u32_e32 v4, 0x1800, v28
	v_lshlrev_b64_e32 v[12:13], 3, v[12:13]
	v_add_nc_u32_e32 v10, 0x1c00, v28
	v_add_nc_u32_e32 v46, 0x4ad, v46
	v_add_co_u32 v22, vcc_lo, v32, v8
	v_lshlrev_b64_e32 v[24:25], 3, v[14:15]
	v_add_nc_u32_e32 v14, 0x2000, v28
	ds_load_2addr_b64 v[4:7], v4 offset0:114 offset1:177
	s_wait_alu 0xfffd
	v_add_co_ci_u32_e32 v23, vcc_lo, v33, v9, vcc_lo
	ds_load_2addr_b64 v[8:11], v10 offset0:112 offset1:175
	v_add_co_u32 v28, vcc_lo, v32, v12
	s_wait_alu 0xfffd
	v_add_co_ci_u32_e32 v29, vcc_lo, v33, v13, vcc_lo
	ds_load_2addr_b64 v[12:15], v14 offset0:110 offset1:173
	v_add_co_u32 v24, vcc_lo, v32, v24
	v_lshlrev_b64_e32 v[30:31], 3, v[46:47]
	s_wait_alu 0xfffd
	v_add_co_ci_u32_e32 v25, vcc_lo, v33, v25, vcc_lo
	v_add_co_u32 v26, vcc_lo, v32, v26
	s_wait_alu 0xfffd
	v_add_co_ci_u32_e32 v27, vcc_lo, v33, v27, vcc_lo
	v_add_co_u32 v30, vcc_lo, v32, v30
	s_wait_alu 0xfffd
	v_add_co_ci_u32_e32 v31, vcc_lo, v33, v31, vcc_lo
	s_wait_dscnt 0x3
	s_clause 0x1
	global_store_b64 v[16:17], v[0:1], off
	global_store_b64 v[18:19], v[2:3], off
	s_wait_dscnt 0x2
	s_clause 0x1
	global_store_b64 v[20:21], v[4:5], off
	global_store_b64 v[22:23], v[6:7], off
	;; [unrolled: 4-line block ×4, first 2 shown]
.LBB0_33:
	s_nop 0
	s_sendmsg sendmsg(MSG_DEALLOC_VGPRS)
	s_endpgm
	.section	.rodata,"a",@progbits
	.p2align	6, 0x0
	.amdhsa_kernel fft_rtc_fwd_len1260_factors_2_2_3_3_5_7_wgs_63_tpt_63_halfLds_sp_op_CI_CI_unitstride_sbrr_C2R_dirReg
		.amdhsa_group_segment_fixed_size 0
		.amdhsa_private_segment_fixed_size 0
		.amdhsa_kernarg_size 104
		.amdhsa_user_sgpr_count 2
		.amdhsa_user_sgpr_dispatch_ptr 0
		.amdhsa_user_sgpr_queue_ptr 0
		.amdhsa_user_sgpr_kernarg_segment_ptr 1
		.amdhsa_user_sgpr_dispatch_id 0
		.amdhsa_user_sgpr_private_segment_size 0
		.amdhsa_wavefront_size32 1
		.amdhsa_uses_dynamic_stack 0
		.amdhsa_enable_private_segment 0
		.amdhsa_system_sgpr_workgroup_id_x 1
		.amdhsa_system_sgpr_workgroup_id_y 0
		.amdhsa_system_sgpr_workgroup_id_z 0
		.amdhsa_system_sgpr_workgroup_info 0
		.amdhsa_system_vgpr_workitem_id 0
		.amdhsa_next_free_vgpr 128
		.amdhsa_next_free_sgpr 39
		.amdhsa_reserve_vcc 1
		.amdhsa_float_round_mode_32 0
		.amdhsa_float_round_mode_16_64 0
		.amdhsa_float_denorm_mode_32 3
		.amdhsa_float_denorm_mode_16_64 3
		.amdhsa_fp16_overflow 0
		.amdhsa_workgroup_processor_mode 1
		.amdhsa_memory_ordered 1
		.amdhsa_forward_progress 0
		.amdhsa_round_robin_scheduling 0
		.amdhsa_exception_fp_ieee_invalid_op 0
		.amdhsa_exception_fp_denorm_src 0
		.amdhsa_exception_fp_ieee_div_zero 0
		.amdhsa_exception_fp_ieee_overflow 0
		.amdhsa_exception_fp_ieee_underflow 0
		.amdhsa_exception_fp_ieee_inexact 0
		.amdhsa_exception_int_div_zero 0
	.end_amdhsa_kernel
	.text
.Lfunc_end0:
	.size	fft_rtc_fwd_len1260_factors_2_2_3_3_5_7_wgs_63_tpt_63_halfLds_sp_op_CI_CI_unitstride_sbrr_C2R_dirReg, .Lfunc_end0-fft_rtc_fwd_len1260_factors_2_2_3_3_5_7_wgs_63_tpt_63_halfLds_sp_op_CI_CI_unitstride_sbrr_C2R_dirReg
                                        ; -- End function
	.section	.AMDGPU.csdata,"",@progbits
; Kernel info:
; codeLenInByte = 14728
; NumSgprs: 41
; NumVgprs: 128
; ScratchSize: 0
; MemoryBound: 0
; FloatMode: 240
; IeeeMode: 1
; LDSByteSize: 0 bytes/workgroup (compile time only)
; SGPRBlocks: 5
; VGPRBlocks: 15
; NumSGPRsForWavesPerEU: 41
; NumVGPRsForWavesPerEU: 128
; Occupancy: 10
; WaveLimiterHint : 1
; COMPUTE_PGM_RSRC2:SCRATCH_EN: 0
; COMPUTE_PGM_RSRC2:USER_SGPR: 2
; COMPUTE_PGM_RSRC2:TRAP_HANDLER: 0
; COMPUTE_PGM_RSRC2:TGID_X_EN: 1
; COMPUTE_PGM_RSRC2:TGID_Y_EN: 0
; COMPUTE_PGM_RSRC2:TGID_Z_EN: 0
; COMPUTE_PGM_RSRC2:TIDIG_COMP_CNT: 0
	.text
	.p2alignl 7, 3214868480
	.fill 96, 4, 3214868480
	.type	__hip_cuid_992d06d0df867b08,@object ; @__hip_cuid_992d06d0df867b08
	.section	.bss,"aw",@nobits
	.globl	__hip_cuid_992d06d0df867b08
__hip_cuid_992d06d0df867b08:
	.byte	0                               ; 0x0
	.size	__hip_cuid_992d06d0df867b08, 1

	.ident	"AMD clang version 19.0.0git (https://github.com/RadeonOpenCompute/llvm-project roc-6.4.0 25133 c7fe45cf4b819c5991fe208aaa96edf142730f1d)"
	.section	".note.GNU-stack","",@progbits
	.addrsig
	.addrsig_sym __hip_cuid_992d06d0df867b08
	.amdgpu_metadata
---
amdhsa.kernels:
  - .args:
      - .actual_access:  read_only
        .address_space:  global
        .offset:         0
        .size:           8
        .value_kind:     global_buffer
      - .offset:         8
        .size:           8
        .value_kind:     by_value
      - .actual_access:  read_only
        .address_space:  global
        .offset:         16
        .size:           8
        .value_kind:     global_buffer
      - .actual_access:  read_only
        .address_space:  global
        .offset:         24
        .size:           8
        .value_kind:     global_buffer
      - .actual_access:  read_only
        .address_space:  global
        .offset:         32
        .size:           8
        .value_kind:     global_buffer
      - .offset:         40
        .size:           8
        .value_kind:     by_value
      - .actual_access:  read_only
        .address_space:  global
        .offset:         48
        .size:           8
        .value_kind:     global_buffer
      - .actual_access:  read_only
        .address_space:  global
        .offset:         56
        .size:           8
        .value_kind:     global_buffer
      - .offset:         64
        .size:           4
        .value_kind:     by_value
      - .actual_access:  read_only
        .address_space:  global
        .offset:         72
        .size:           8
        .value_kind:     global_buffer
      - .actual_access:  read_only
        .address_space:  global
        .offset:         80
        .size:           8
        .value_kind:     global_buffer
      - .actual_access:  read_only
        .address_space:  global
        .offset:         88
        .size:           8
        .value_kind:     global_buffer
      - .actual_access:  write_only
        .address_space:  global
        .offset:         96
        .size:           8
        .value_kind:     global_buffer
    .group_segment_fixed_size: 0
    .kernarg_segment_align: 8
    .kernarg_segment_size: 104
    .language:       OpenCL C
    .language_version:
      - 2
      - 0
    .max_flat_workgroup_size: 63
    .name:           fft_rtc_fwd_len1260_factors_2_2_3_3_5_7_wgs_63_tpt_63_halfLds_sp_op_CI_CI_unitstride_sbrr_C2R_dirReg
    .private_segment_fixed_size: 0
    .sgpr_count:     41
    .sgpr_spill_count: 0
    .symbol:         fft_rtc_fwd_len1260_factors_2_2_3_3_5_7_wgs_63_tpt_63_halfLds_sp_op_CI_CI_unitstride_sbrr_C2R_dirReg.kd
    .uniform_work_group_size: 1
    .uses_dynamic_stack: false
    .vgpr_count:     128
    .vgpr_spill_count: 0
    .wavefront_size: 32
    .workgroup_processor_mode: 1
amdhsa.target:   amdgcn-amd-amdhsa--gfx1201
amdhsa.version:
  - 1
  - 2
...

	.end_amdgpu_metadata
